;; amdgpu-corpus repo=ROCm/rocFFT kind=compiled arch=gfx1201 opt=O3
	.text
	.amdgcn_target "amdgcn-amd-amdhsa--gfx1201"
	.amdhsa_code_object_version 6
	.protected	bluestein_single_back_len1326_dim1_half_op_CI_CI ; -- Begin function bluestein_single_back_len1326_dim1_half_op_CI_CI
	.globl	bluestein_single_back_len1326_dim1_half_op_CI_CI
	.p2align	8
	.type	bluestein_single_back_len1326_dim1_half_op_CI_CI,@function
bluestein_single_back_len1326_dim1_half_op_CI_CI: ; @bluestein_single_back_len1326_dim1_half_op_CI_CI
; %bb.0:
	s_load_b128 s[8:11], s[0:1], 0x28
	v_mul_u32_u24_e32 v1, 0x283, v0
	v_mov_b32_e32 v25, 0
	s_mov_b32 s2, exec_lo
	s_delay_alu instid0(VALU_DEP_2) | instskip(NEXT) | instid1(VALU_DEP_1)
	v_lshrrev_b32_e32 v1, 16, v1
	v_lshl_add_u32 v24, ttmp9, 1, v1
	s_wait_kmcnt 0x0
	s_delay_alu instid0(VALU_DEP_1)
	v_cmpx_gt_u64_e64 s[8:9], v[24:25]
	s_cbranch_execz .LBB0_23
; %bb.1:
	v_mul_lo_u16 v2, 0x66, v1
	s_clause 0x1
	s_load_b64 s[8:9], s[0:1], 0x0
	s_load_b64 s[12:13], s[0:1], 0x38
	v_and_b32_e32 v1, 1, v1
	v_sub_nc_u16 v0, v0, v2
	s_delay_alu instid0(VALU_DEP_2) | instskip(NEXT) | instid1(VALU_DEP_2)
	v_cmp_eq_u32_e32 vcc_lo, 1, v1
	v_and_b32_e32 v46, 0xffff, v0
	v_cndmask_b32_e64 v31, 0, 0x52e, vcc_lo
	v_cmp_gt_u16_e32 vcc_lo, 0x4e, v0
	s_delay_alu instid0(VALU_DEP_3) | instskip(NEXT) | instid1(VALU_DEP_3)
	v_lshlrev_b32_e32 v45, 2, v46
	v_lshlrev_b32_e32 v47, 2, v31
	s_and_saveexec_b32 s3, vcc_lo
	s_cbranch_execz .LBB0_3
; %bb.2:
	s_load_b64 s[4:5], s[0:1], 0x18
	s_wait_kmcnt 0x0
	s_load_b128 s[4:7], s[4:5], 0x0
	s_wait_kmcnt 0x0
	v_mad_co_u64_u32 v[0:1], null, s6, v24, 0
	v_mad_co_u64_u32 v[2:3], null, s4, v46, 0
	s_delay_alu instid0(VALU_DEP_1) | instskip(NEXT) | instid1(VALU_DEP_1)
	v_mad_co_u64_u32 v[4:5], null, s7, v24, v[1:2]
	v_mad_co_u64_u32 v[5:6], null, s5, v46, v[3:4]
	v_mov_b32_e32 v1, v4
	s_mul_u64 s[4:5], s[4:5], 0x138
	s_delay_alu instid0(VALU_DEP_1) | instskip(NEXT) | instid1(VALU_DEP_3)
	v_lshlrev_b64_e32 v[0:1], 2, v[0:1]
	v_mov_b32_e32 v3, v5
	s_clause 0xe
	global_load_b32 v4, v45, s[8:9]
	global_load_b32 v5, v45, s[8:9] offset:312
	global_load_b32 v6, v45, s[8:9] offset:624
	;; [unrolled: 1-line block ×14, first 2 shown]
	v_lshlrev_b64_e32 v[2:3], 2, v[2:3]
	v_add_co_u32 v0, s2, s10, v0
	s_delay_alu instid0(VALU_DEP_1) | instskip(NEXT) | instid1(VALU_DEP_2)
	v_add_co_ci_u32_e64 v1, s2, s11, v1, s2
	v_add_co_u32 v0, s2, v0, v2
	s_wait_alu 0xf1ff
	s_delay_alu instid0(VALU_DEP_2) | instskip(SKIP_1) | instid1(VALU_DEP_2)
	v_add_co_ci_u32_e64 v1, s2, v1, v3, s2
	s_wait_alu 0xfffe
	v_add_co_u32 v2, s2, v0, s4
	s_wait_alu 0xf1ff
	s_delay_alu instid0(VALU_DEP_2)
	v_add_co_ci_u32_e64 v3, s2, s5, v1, s2
	global_load_b32 v19, v[0:1], off
	v_add_co_u32 v0, s2, v2, s4
	s_wait_alu 0xf1ff
	v_add_co_ci_u32_e64 v1, s2, s5, v3, s2
	global_load_b32 v20, v45, s[8:9] offset:4680
	global_load_b32 v21, v[2:3], off
	global_load_b32 v22, v45, s[8:9] offset:4992
	global_load_b32 v23, v[0:1], off
	v_add_co_u32 v0, s2, v0, s4
	s_wait_alu 0xf1ff
	v_add_co_ci_u32_e64 v1, s2, s5, v1, s2
	s_delay_alu instid0(VALU_DEP_2) | instskip(SKIP_1) | instid1(VALU_DEP_2)
	v_add_co_u32 v2, s2, v0, s4
	s_wait_alu 0xf1ff
	v_add_co_ci_u32_e64 v3, s2, s5, v1, s2
	s_clause 0x1
	global_load_b32 v25, v[0:1], off
	global_load_b32 v26, v[2:3], off
	v_add_co_u32 v0, s2, v2, s4
	s_wait_alu 0xf1ff
	v_add_co_ci_u32_e64 v1, s2, s5, v3, s2
	s_delay_alu instid0(VALU_DEP_2) | instskip(SKIP_1) | instid1(VALU_DEP_2)
	v_add_co_u32 v2, s2, v0, s4
	s_wait_alu 0xf1ff
	v_add_co_ci_u32_e64 v3, s2, s5, v1, s2
	global_load_b32 v27, v[0:1], off
	v_add_co_u32 v0, s2, v2, s4
	s_wait_alu 0xf1ff
	v_add_co_ci_u32_e64 v1, s2, s5, v3, s2
	global_load_b32 v28, v[2:3], off
	global_load_b32 v29, v[0:1], off
	v_add_co_u32 v0, s2, v0, s4
	s_wait_alu 0xf1ff
	v_add_co_ci_u32_e64 v1, s2, s5, v1, s2
	s_delay_alu instid0(VALU_DEP_2) | instskip(SKIP_1) | instid1(VALU_DEP_2)
	v_add_co_u32 v2, s2, v0, s4
	s_wait_alu 0xf1ff
	v_add_co_ci_u32_e64 v3, s2, s5, v1, s2
	global_load_b32 v30, v[0:1], off
	v_add_co_u32 v0, s2, v2, s4
	s_wait_alu 0xf1ff
	v_add_co_ci_u32_e64 v1, s2, s5, v3, s2
	;; [unrolled: 13-line block ×3, first 2 shown]
	global_load_b32 v35, v[2:3], off
	v_add_co_u32 v2, s2, v0, s4
	s_wait_alu 0xf1ff
	v_add_co_ci_u32_e64 v3, s2, s5, v1, s2
	global_load_b32 v36, v[0:1], off
	v_add_co_u32 v0, s2, v2, s4
	s_wait_alu 0xf1ff
	v_add_co_ci_u32_e64 v1, s2, s5, v3, s2
	;; [unrolled: 4-line block ×3, first 2 shown]
	global_load_b32 v0, v[0:1], off
	global_load_b32 v1, v[2:3], off
	v_lshl_add_u32 v3, v46, 2, v47
	v_add_nc_u32_e32 v2, v47, v45
	s_delay_alu instid0(VALU_DEP_1)
	v_add_nc_u32_e32 v38, 0x200, v2
	v_add_nc_u32_e32 v39, 0x400, v2
	;; [unrolled: 1-line block ×6, first 2 shown]
	s_wait_loadcnt 0x21
	v_lshrrev_b32_e32 v44, 16, v4
	s_wait_loadcnt 0x20
	v_lshrrev_b32_e32 v48, 16, v5
	;; [unrolled: 2-line block ×16, first 2 shown]
	v_mul_f16_e32 v63, v44, v19
	s_wait_loadcnt 0x11
	v_lshrrev_b32_e32 v64, 16, v20
	s_wait_loadcnt 0x10
	v_lshrrev_b32_e32 v65, 16, v21
	;; [unrolled: 2-line block ×3, first 2 shown]
	v_mul_f16_e32 v44, v44, v60
	v_fma_f16 v60, v4, v60, -v63
	v_mul_f16_e32 v63, v48, v21
	s_delay_alu instid0(VALU_DEP_3)
	v_fmac_f16_e32 v44, v4, v19
	v_mul_f16_e32 v4, v48, v65
	s_wait_loadcnt 0xe
	v_lshrrev_b32_e32 v19, 16, v23
	v_mul_f16_e32 v48, v49, v23
	v_fma_f16 v63, v5, v65, -v63
	v_pack_b32_f16 v44, v44, v60
	v_fmac_f16_e32 v4, v5, v21
	v_mul_f16_e32 v5, v49, v19
	s_wait_loadcnt 0xd
	v_lshrrev_b32_e32 v21, 16, v25
	v_fma_f16 v19, v6, v19, -v48
	v_mul_f16_e32 v48, v50, v25
	ds_store_b32 v3, v44
	v_pack_b32_f16 v3, v4, v63
	v_fmac_f16_e32 v5, v6, v23
	v_mul_f16_e32 v4, v50, v21
	s_wait_loadcnt 0xc
	v_lshrrev_b32_e32 v6, 16, v26
	v_mul_f16_e32 v23, v51, v26
	v_fma_f16 v21, v7, v21, -v48
	v_pack_b32_f16 v5, v5, v19
	v_fmac_f16_e32 v4, v7, v25
	v_mul_f16_e32 v7, v51, v6
	s_wait_loadcnt 0xb
	v_lshrrev_b32_e32 v19, 16, v27
	v_fma_f16 v6, v8, v6, -v23
	v_mul_f16_e32 v23, v52, v27
	ds_store_2addr_b32 v2, v3, v5 offset0:78 offset1:156
	v_pack_b32_f16 v3, v4, v21
	v_fmac_f16_e32 v7, v8, v26
	v_mul_f16_e32 v4, v52, v19
	s_wait_loadcnt 0xa
	v_lshrrev_b32_e32 v5, 16, v28
	v_mul_f16_e32 v8, v53, v28
	v_fma_f16 v19, v9, v19, -v23
	v_pack_b32_f16 v6, v7, v6
	v_fmac_f16_e32 v4, v9, v27
	v_mul_f16_e32 v7, v53, v5
	v_fma_f16 v5, v10, v5, -v8
	s_wait_loadcnt 0x9
	v_lshrrev_b32_e32 v8, 16, v29
	v_mul_f16_e32 v9, v54, v29
	ds_store_2addr_b32 v38, v3, v6 offset0:106 offset1:184
	v_pack_b32_f16 v3, v4, v19
	v_fmac_f16_e32 v7, v10, v28
	v_mul_f16_e32 v4, v54, v8
	s_wait_loadcnt 0x8
	v_lshrrev_b32_e32 v6, 16, v30
	v_mul_f16_e32 v10, v55, v30
	v_fma_f16 v8, v11, v8, -v9
	v_pack_b32_f16 v5, v7, v5
	v_fmac_f16_e32 v4, v11, v29
	v_mul_f16_e32 v7, v55, v6
	s_wait_loadcnt 0x7
	v_lshrrev_b32_e32 v9, 16, v32
	v_fma_f16 v6, v12, v6, -v10
	v_mul_f16_e32 v10, v56, v32
	ds_store_2addr_b32 v39, v3, v5 offset0:134 offset1:212
	v_pack_b32_f16 v3, v4, v8
	v_fmac_f16_e32 v7, v12, v30
	v_mul_f16_e32 v4, v56, v9
	s_wait_loadcnt 0x6
	v_lshrrev_b32_e32 v5, 16, v33
	v_fma_f16 v8, v13, v9, -v10
	v_mul_f16_e32 v9, v57, v33
	v_pack_b32_f16 v6, v7, v6
	v_fmac_f16_e32 v4, v13, v32
	v_mul_f16_e32 v7, v57, v5
	s_wait_loadcnt 0x5
	v_lshrrev_b32_e32 v10, 16, v34
	v_mul_f16_e32 v11, v58, v34
	v_fma_f16 v5, v14, v5, -v9
	v_pack_b32_f16 v4, v4, v8
	v_fmac_f16_e32 v7, v14, v33
	v_mul_f16_e32 v8, v58, v10
	v_fma_f16 v9, v15, v10, -v11
	s_wait_loadcnt 0x4
	v_lshrrev_b32_e32 v10, 16, v35
	v_mul_f16_e32 v11, v59, v35
	v_pack_b32_f16 v5, v7, v5
	v_fmac_f16_e32 v8, v15, v34
	s_wait_loadcnt 0x3
	v_lshrrev_b32_e32 v7, 16, v36
	v_mul_f16_e32 v12, v59, v10
	v_fma_f16 v10, v16, v10, -v11
	v_mul_f16_e32 v11, v61, v36
	s_wait_loadcnt 0x2
	v_lshrrev_b32_e32 v13, 16, v37
	v_pack_b32_f16 v8, v8, v9
	v_mul_f16_e32 v9, v61, v7
	v_fmac_f16_e32 v12, v16, v35
	v_fma_f16 v7, v17, v7, -v11
	v_mul_f16_e32 v11, v62, v37
	s_wait_loadcnt 0x1
	v_lshrrev_b32_e32 v14, 16, v0
	s_wait_loadcnt 0x0
	v_lshrrev_b32_e32 v16, 16, v1
	v_mul_f16_e32 v15, v62, v13
	v_fmac_f16_e32 v9, v17, v36
	v_fma_f16 v11, v18, v13, -v11
	v_mul_f16_e32 v13, v64, v0
	v_mul_f16_e32 v17, v64, v14
	;; [unrolled: 1-line block ×4, first 2 shown]
	v_fmac_f16_e32 v15, v18, v37
	v_fma_f16 v13, v20, v14, -v13
	v_fmac_f16_e32 v17, v20, v0
	v_fma_f16 v0, v22, v16, -v19
	v_fmac_f16_e32 v21, v22, v1
	v_pack_b32_f16 v1, v12, v10
	v_pack_b32_f16 v7, v9, v7
	;; [unrolled: 1-line block ×5, first 2 shown]
	v_add_nc_u32_e32 v2, 0x1000, v2
	ds_store_2addr_b32 v40, v3, v6 offset0:34 offset1:112
	ds_store_2addr_b32 v41, v4, v5 offset0:62 offset1:140
	;; [unrolled: 1-line block ×5, first 2 shown]
.LBB0_3:
	s_or_b32 exec_lo, exec_lo, s3
	v_mov_b32_e32 v6, 0
                                        ; kill: def $vgpr0 killed $sgpr0 killed $exec
	global_wb scope:SCOPE_SE
	s_wait_dscnt 0x0
	s_wait_kmcnt 0x0
	s_barrier_signal -1
	s_barrier_wait -1
	global_inv scope:SCOPE_SE
                                        ; implicit-def: $vgpr21
                                        ; implicit-def: $vgpr1
                                        ; implicit-def: $vgpr3
                                        ; implicit-def: $vgpr5
                                        ; implicit-def: $vgpr9
                                        ; implicit-def: $vgpr11
                                        ; implicit-def: $vgpr18
                                        ; implicit-def: $vgpr20
                                        ; implicit-def: $vgpr56
	s_and_saveexec_b32 s2, vcc_lo
	s_cbranch_execz .LBB0_5
; %bb.4:
	v_lshl_add_u32 v12, v31, 2, v45
	ds_load_2addr_b32 v[6:7], v12 offset1:78
	ds_load_2addr_b32 v[19:20], v12 offset0:156 offset1:234
	v_add_nc_u32_e32 v0, 0x400, v12
	v_add_nc_u32_e32 v1, 0x600, v12
	;; [unrolled: 1-line block ×5, first 2 shown]
	ds_load_2addr_b32 v[17:18], v0 offset0:56 offset1:134
	ds_load_2addr_b32 v[10:11], v1 offset0:84 offset1:162
	;; [unrolled: 1-line block ×6, first 2 shown]
	ds_load_b32 v21, v12 offset:4992
	s_wait_dscnt 0x7
	v_alignbit_b32 v56, v19, v19, 16
.LBB0_5:
	s_wait_alu 0xfffe
	s_or_b32 exec_lo, exec_lo, s2
	s_wait_dscnt 0x0
	v_pk_add_f16 v19, v7, v21 neg_lo:[0,1] neg_hi:[0,1]
	v_pk_add_f16 v25, v56, v1 op_sel:[1,0] op_sel_hi:[0,1] neg_lo:[0,1] neg_hi:[0,1]
	v_pk_add_f16 v23, v21, v7
	v_pk_add_f16 v22, v1, v56 op_sel:[1,0] op_sel_hi:[0,1]
	v_pk_add_f16 v26, v20, v0 neg_lo:[0,1] neg_hi:[0,1]
	v_lshrrev_b32_e32 v85, 16, v19
	v_lshrrev_b32_e32 v82, 16, v25
	v_pk_add_f16 v27, v0, v20
	v_lshrrev_b32_e32 v38, 16, v22
	v_lshrrev_b32_e32 v90, 16, v26
	v_mul_f16_e32 v60, 0xbbf7, v85
	v_mul_f16_e32 v61, 0xb1e1, v82
	;; [unrolled: 1-line block ×5, first 2 shown]
	v_fmamk_f16 v13, v23, 0x2de8, v60
	v_fmamk_f16 v28, v38, 0xbbdd, v61
	;; [unrolled: 1-line block ×4, first 2 shown]
	v_mul_f16_e32 v75, 0x3836, v82
	v_add_f16_e32 v13, v13, v6
	v_mul_f16_e32 v65, 0x3bb2, v90
	v_add_f16_e32 v12, v12, v6
	v_add_f16_e32 v14, v14, v6
	v_fmamk_f16 v15, v38, 0xb8d2, v53
	v_add_f16_e32 v13, v28, v13
	v_pk_add_f16 v28, v17, v3 neg_lo:[0,1] neg_hi:[0,1]
	v_fmamk_f16 v29, v38, 0xbacd, v75
	v_mul_f16_e32 v57, 0x31e1, v90
	v_fmamk_f16 v30, v27, 0xb461, v65
	v_add_f16_e32 v12, v15, v12
	v_lshrrev_b32_e32 v93, 16, v28
	v_add_f16_e32 v14, v29, v14
	v_pk_add_f16 v29, v3, v17
	v_fmamk_f16 v15, v27, 0xbbdd, v57
	v_add_f16_e32 v13, v30, v13
	v_mul_f16_e32 v59, 0x3bb2, v93
	v_pk_add_f16 v30, v18, v2 neg_lo:[0,1] neg_hi:[0,1]
	v_mul_f16_e32 v69, 0x35c8, v93
	v_add_f16_e32 v12, v15, v12
	v_pk_add_f16 v39, v10, v5 neg_lo:[0,1] neg_hi:[0,1]
	v_fmamk_f16 v15, v29, 0xb461, v59
	v_lshrrev_b32_e32 v99, 16, v30
	v_mul_f16_e32 v81, 0x3964, v90
	v_pk_add_f16 v37, v2, v18
	v_lshrrev_b32_e32 v102, 16, v39
	v_add_f16_e32 v12, v15, v12
	v_fmamk_f16 v15, v29, 0x3b76, v69
	v_mul_f16_e32 v62, 0x3964, v99
	v_fmamk_f16 v34, v27, 0x39e9, v81
	v_mul_f16_e32 v87, 0xbb29, v93
	v_pk_add_f16 v40, v5, v10
	v_add_f16_e32 v13, v15, v13
	v_fmamk_f16 v15, v37, 0x39e9, v62
	v_mul_f16_e32 v63, 0xb5c8, v102
	v_pk_mul_f16 v16, 0x3b7639e9, v23
	v_add_f16_e32 v14, v34, v14
	v_fmamk_f16 v34, v29, 0x3722, v87
	v_mul_f16_e32 v77, 0xbb29, v99
	v_add_f16_e32 v12, v15, v12
	v_fmamk_f16 v41, v40, 0x3b76, v63
	v_pk_mul_f16 v32, 0xbbf7b964, v25
	v_pk_fma_f16 v43, 0xb964b5c8, v19, v16 op_sel:[0,0,1] op_sel_hi:[1,1,0]
	v_add_f16_e32 v14, v34, v14
	v_mul_f16_e32 v91, 0xb1e1, v99
	v_fmamk_f16 v34, v37, 0x3722, v77
	v_add_f16_e32 v12, v41, v12
	v_pk_add_f16 v41, v11, v4 neg_lo:[0,1] neg_hi:[0,1]
	v_pk_fma_f16 v50, 0x2de839e9, v22, v32
	v_pk_mul_f16 v33, 0x3722b8d2, v27
	v_fmamk_f16 v15, v37, 0xbbdd, v91
	v_add_f16_e32 v13, v34, v13
	v_lshrrev_b32_e32 v34, 16, v43
	v_mul_f16_e32 v88, 0xb836, v102
	v_lshrrev_b32_e32 v129, 16, v41
	v_pk_fma_f16 v52, 0xba62bb29, v26, v33 op_sel:[0,0,1] op_sel_hi:[1,1,0]
	v_pk_mul_f16 v35, 0x2de8bbdd, v29
	v_add_f16_e32 v14, v15, v14
	v_add_f16_e32 v15, v34, v6
	v_lshrrev_b32_e32 v34, 16, v50
	v_pk_add_f16 v42, v4, v11
	v_fmamk_f16 v44, v40, 0xbacd, v88
	v_mul_f16_e64 v76, 0xbbf7, v129
	v_pk_fma_f16 v54, 0xb1e1bbf7, v28, v35 op_sel:[0,0,1] op_sel_hi:[1,1,0]
	v_pk_mul_f16 v36, 0xb461bacd, v37
	v_mul_f16_e32 v104, 0x3bf7, v102
	v_add_f16_e32 v15, v34, v15
	v_lshrrev_b32_e32 v34, 16, v52
	v_add_f16_e32 v13, v44, v13
	v_fmamk_f16 v44, v42, 0x2de8, v76
	v_pk_fma_f16 v58, 0x3836bbb2, v30, v36 op_sel:[0,0,1] op_sel_hi:[1,1,0]
	v_pk_mul_f16 v49, 0xb8d2b461, v40
	v_fmamk_f16 v48, v40, 0x2de8, v104
	v_add_f16_e32 v15, v34, v15
	v_lshrrev_b32_e32 v34, 16, v54
	v_add_f16_e32 v12, v44, v12
	v_pk_add_f16 v44, v8, v9 neg_lo:[0,1] neg_hi:[0,1]
	v_pk_fma_f16 v64, 0x3bb2ba62, v39, v49 op_sel:[0,0,1] op_sel_hi:[1,1,0]
	v_pk_mul_f16 v108, 0xbacd3722, v42
	v_add_f16_e32 v14, v48, v14
	v_add_f16_e32 v15, v34, v15
	v_lshrrev_b32_e32 v34, 16, v58
	v_mul_f16_e64 v92, 0x3a62, v129
	v_pk_add_f16 v48, v9, v8
	v_lshrrev_b32_e32 v127, 16, v44
	v_pk_fma_f16 v68, 0x3b29b836, v41, v108 op_sel:[0,0,1] op_sel_hi:[1,1,0]
	v_add_f16_e32 v15, v34, v15
	v_lshrrev_b32_e32 v34, 16, v64
	v_fmamk_f16 v66, v42, 0xb8d2, v92
	v_pk_mul_f16 v124, 0xbbdd3b76, v48
	v_mul_f16_e64 v109, 0xb5c8, v129
	v_mul_f16_e32 v79, 0xb836, v127
	v_mul_f16_e32 v51, 0xb5c8, v85
	v_add_f16_e32 v15, v34, v15
	v_lshrrev_b32_e32 v34, 16, v68
	v_pk_fma_f16 v70, 0x35c8b1e1, v44, v124 op_sel:[0,0,1] op_sel_hi:[1,1,0]
	v_add_f16_e32 v13, v66, v13
	v_fmamk_f16 v66, v42, 0x3b76, v109
	v_fmamk_f16 v67, v48, 0xbacd, v79
	v_add_f16_e32 v15, v34, v15
	v_lshrrev_b32_e32 v34, 16, v70
	v_mul_f16_e32 v84, 0x3964, v127
	v_mul_f16_e32 v116, 0xba62, v127
	v_add_f16_e32 v72, v66, v14
	v_add_f16_e32 v14, v67, v12
	v_fmamk_f16 v66, v23, 0x3b76, v51
	v_lshrrev_b32_e32 v67, 16, v23
	v_mul_f16_e32 v94, 0xb964, v19
	v_mul_f16_e32 v83, 0xb964, v82
	v_add_f16_e32 v15, v34, v15
	v_fmamk_f16 v12, v48, 0x39e9, v84
	v_fmamk_f16 v34, v48, 0xb8d2, v116
	v_add_f16_e32 v73, v66, v6
	v_lshrrev_b32_e32 v66, 16, v6
	v_fma_f16 v74, v67, 0x39e9, -v94
	v_mul_f16_e32 v96, 0xbbf7, v25
	v_fmamk_f16 v78, v38, 0x39e9, v83
	v_mul_f16_e32 v106, 0xbb29, v19
	v_add_f16_e32 v13, v12, v13
	v_add_f16_e32 v12, v34, v72
	;; [unrolled: 1-line block ×3, first 2 shown]
	v_fma_f16 v72, v22, 0x2de8, -v96
	v_add_f16_e32 v74, v78, v73
	v_fma_f16 v73, v67, 0x3722, -v106
	v_mul_f16_e32 v107, 0xba62, v25
	v_mul_f16_e64 v131, 0xbbf7, v19
	v_mul_f16_e64 v145, 0xbbb2, v19
	v_add_f16_e32 v34, v72, v34
	v_add_f16_e32 v72, v73, v66
	v_fma_f16 v73, v22, 0xb8d2, -v107
	v_fma_f16 v78, v67, 0x2de8, -v131
	v_mul_f16_e64 v133, 0xb1e1, v25
	v_fma_f16 v80, v67, 0xb461, -v145
	v_mul_f16_e64 v146, 0x3836, v25
	v_add_f16_e32 v72, v73, v72
	v_add_f16_e32 v78, v78, v66
	v_fma_f16 v86, v22, 0xbbdd, -v133
	v_add_f16_e32 v80, v80, v66
	v_fma_f16 v95, v22, 0xbacd, -v146
	v_mul_f16_e32 v89, 0xbb29, v90
	v_lshrrev_b32_e32 v73, 16, v27
	v_mul_f16_e32 v100, 0xba62, v26
	v_mul_f16_e32 v113, 0x31e1, v26
	v_add_f16_e32 v78, v86, v78
	v_add_f16_e32 v80, v95, v80
	v_fmamk_f16 v86, v27, 0x3722, v89
	v_fma_f16 v95, v73, 0xb8d2, -v100
	v_fma_f16 v97, v73, 0xbbdd, -v113
	v_mul_f16_e64 v135, 0x3bb2, v26
	v_mul_f16_e64 v147, 0x3964, v26
	v_add_f16_e32 v74, v86, v74
	v_add_f16_e32 v34, v95, v34
	;; [unrolled: 1-line block ×3, first 2 shown]
	v_fma_f16 v97, v73, 0xb461, -v135
	v_fma_f16 v98, v73, 0x39e9, -v147
	v_mul_f16_e32 v95, 0xbbf7, v93
	v_lshrrev_b32_e32 v72, 16, v29
	v_mul_f16_e32 v103, 0xb1e1, v28
	v_mul_f16_e32 v121, 0x3bb2, v28
	v_add_f16_e32 v78, v97, v78
	v_add_f16_e32 v80, v98, v80
	v_fmamk_f16 v97, v29, 0x2de8, v95
	v_fma_f16 v98, v72, 0xbbdd, -v103
	v_fma_f16 v101, v72, 0xb461, -v121
	v_mul_f16_e64 v140, 0x35c8, v28
	v_mul_f16_e64 v148, 0xbb29, v28
	v_add_f16_e32 v110, v97, v74
	v_add_f16_e32 v34, v98, v34
	v_add_f16_e32 v86, v101, v86
	v_fma_f16 v98, v72, 0x3b76, -v140
	v_fma_f16 v101, v72, 0x3722, -v148
	v_lshrrev_b32_e32 v74, 16, v37
	v_mul_f16_e32 v105, 0x3836, v30
	v_mul_f16_e32 v125, 0x3964, v30
	;; [unrolled: 1-line block ×3, first 2 shown]
	v_add_f16_e32 v111, v98, v78
	v_add_f16_e32 v80, v101, v80
	v_fma_f16 v98, v74, 0xbacd, -v105
	v_fma_f16 v101, v74, 0x39e9, -v125
	v_mul_f16_e64 v141, 0xbb29, v30
	v_fmamk_f16 v78, v37, 0xb461, v97
	v_mul_f16_e64 v149, 0xb1e1, v30
	v_add_f16_e32 v34, v98, v34
	v_add_f16_e32 v86, v101, v86
	v_fma_f16 v101, v74, 0x3722, -v141
	v_mul_f16_e32 v98, 0xba62, v102
	v_add_f16_e32 v112, v78, v110
	v_fma_f16 v114, v74, 0xbbdd, -v149
	v_lshrrev_b32_e32 v78, 16, v40
	v_add_f16_e32 v111, v101, v111
	v_fmamk_f16 v101, v40, 0xb8d2, v98
	v_mul_f16_e32 v110, 0x3bb2, v39
	v_mul_f16_e32 v118, 0xb5c8, v39
	v_add_f16_e32 v114, v114, v80
	v_mul_f16_e64 v142, 0xb836, v39
	v_add_f16_e32 v117, v101, v112
	v_mul_f16_e64 v101, 0xb836, v129
	v_fma_f16 v80, v78, 0xb461, -v110
	v_fma_f16 v115, v78, 0x3b76, -v118
	v_mul_f16_e64 v150, 0x3bf7, v39
	v_mul_f16_e32 v112, 0x3b29, v41
	v_fmamk_f16 v120, v42, 0xbacd, v101
	v_add_f16_e32 v34, v80, v34
	v_add_f16_e32 v86, v115, v86
	v_fma_f16 v115, v78, 0xbacd, -v142
	v_fma_f16 v119, v78, 0x2de8, -v150
	v_lshrrev_b32_e32 v80, 16, v42
	v_mul_f16_e32 v126, 0xbbf7, v41
	v_add_f16_e64 v130, v120, v117
	v_pk_fma_f16 v120, 0xb964b5c8, v19, v16 op_sel:[0,0,1] op_sel_hi:[1,1,0] neg_lo:[0,1,0] neg_hi:[0,1,0]
	v_add_f16_e32 v111, v115, v111
	v_add_f16_e32 v119, v119, v114
	v_fma_f16 v114, v80, 0x3722, -v112
	v_fma_f16 v115, v80, 0x2de8, -v126
	v_mul_f16_e64 v143, 0x3a62, v41
	v_pk_fma_f16 v122, 0x2de839e9, v22, v32 neg_lo:[0,0,1] neg_hi:[0,0,1]
	v_add_f16_e32 v32, v120, v66
	v_add_f16_e32 v16, v114, v34
	;; [unrolled: 1-line block ×3, first 2 shown]
	v_fma_f16 v115, v80, 0xb8d2, -v143
	v_pk_fma_f16 v114, 0xba62bb29, v26, v33 op_sel:[0,0,1] op_sel_hi:[1,1,0] neg_lo:[0,1,0] neg_hi:[0,1,0]
	v_add_f16_e32 v32, v122, v32
	v_mul_f16_e64 v151, 0xb5c8, v41
	v_pk_fma_f16 v117, 0x3836bbb2, v30, v36 op_sel:[0,0,1] op_sel_hi:[1,1,0] neg_lo:[0,1,0] neg_hi:[0,1,0]
	v_add_f16_e64 v134, v115, v111
	v_pk_fma_f16 v115, 0xb1e1bbf7, v28, v35 op_sel:[0,0,1] op_sel_hi:[1,1,0] neg_lo:[0,1,0] neg_hi:[0,1,0]
	v_add_f16_e32 v32, v114, v32
	v_fma_f16 v33, v80, 0x3b76, -v151
	v_lshrrev_b32_e32 v86, 16, v48
	v_mul_f16_e64 v128, 0x35c8, v44
	s_clause 0x1
	s_load_b64 s[4:5], s[0:1], 0x20
	s_load_b64 s[2:3], s[0:1], 0x8
	v_add_f16_e32 v32, v115, v32
	v_add_f16_e64 v136, v33, v119
	v_pk_fma_f16 v119, 0x3bb2ba62, v39, v49 op_sel:[0,0,1] op_sel_hi:[1,1,0] neg_lo:[0,1,0] neg_hi:[0,1,0]
	v_fma_f16 v35, v86, 0x3b76, -v128
	v_mul_f16_e64 v132, 0xb836, v44
	v_add_f16_e32 v32, v117, v32
	v_mul_f16_e64 v144, 0x3964, v44
	v_mul_f16_e64 v152, 0xba62, v44
	v_pk_fma_f16 v123, 0x3b29b836, v41, v108 op_sel:[0,0,1] op_sel_hi:[1,1,0] neg_lo:[0,1,0] neg_hi:[0,1,0]
	v_mul_f16_e32 v111, 0xb1e1, v127
	v_add_f16_e32 v32, v119, v32
	v_add_f16_e32 v33, v35, v16
	v_fma_f16 v16, v86, 0xbacd, -v132
	v_fma_f16 v35, v86, 0x39e9, -v144
	;; [unrolled: 1-line block ×3, first 2 shown]
	v_pk_fma_f16 v124, 0x35c8b1e1, v44, v124 op_sel:[0,0,1] op_sel_hi:[1,1,0] neg_lo:[0,1,0] neg_hi:[0,1,0]
	v_fmamk_f16 v49, v48, 0xbbdd, v111
	v_add_f16_e32 v108, v123, v32
	v_add_f16_e32 v34, v16, v34
	v_add_f16_e64 v35, v35, v134
	v_add_f16_e64 v32, v36, v136
	;; [unrolled: 1-line block ×3, first 2 shown]
	v_add_f16_e32 v36, v124, v108
	v_mul_lo_u16 v49, v46, 17
	global_wb scope:SCOPE_SE
	s_wait_kmcnt 0x0
	s_barrier_signal -1
	s_barrier_wait -1
	global_inv scope:SCOPE_SE
	s_and_saveexec_b32 s0, vcc_lo
	s_cbranch_execz .LBB0_7
; %bb.6:
	v_mul_f16_e64 v153, 0xb836, v19
	v_mul_f16_e64 v157, 0xb836, v85
	;; [unrolled: 1-line block ×5, first 2 shown]
	v_fma_f16 v108, 0xbacd, v67, v153
	v_fma_f16 v134, v23, 0xbacd, -v157
	v_fma_f16 v130, 0x3722, v22, v154
	v_mul_f16_e64 v138, 0xbbf7, v90
	v_fma_f16 v137, v38, 0x3722, -v159
	v_add_f16_e32 v108, v108, v66
	v_add_f16_e64 v134, v134, v6
	v_mul_f16_e64 v156, 0x3a62, v28
	v_fma_f16 v136, 0x2de8, v73, v155
	v_mul_f16_e64 v139, 0x3a62, v93
	v_add_f16_e64 v108, v130, v108
	v_fma_f16 v160, v27, 0x2de8, -v138
	v_add_f16_e64 v137, v137, v134
	v_mul_f16_e64 v158, 0xb5c8, v30
	v_fma_f16 v130, 0xb8d2, v72, v156
	v_add_f16_e64 v108, v136, v108
	v_mul_f16_e64 v134, 0xb5c8, v99
	v_fma_f16 v161, v29, 0xb8d2, -v139
	v_add_f16_e64 v137, v160, v137
	v_mul_f16_e64 v163, 0xba62, v19
	v_fma_f16 v136, 0x3b76, v74, v158
	v_add_f16_e64 v108, v130, v108
	v_mul_f16_e64 v160, 0xb1e1, v39
	v_fma_f16 v162, v37, 0x3b76, -v134
	v_add_f16_e64 v137, v161, v137
	v_fma_f16 v164, 0xb8d2, v67, v163
	v_mul_f16_e64 v165, 0x3bb2, v25
	v_mul_f16_e64 v130, 0xb1e1, v102
	v_add_f16_e64 v108, v136, v108
	v_fma_f16 v136, 0xbbdd, v78, v160
	v_mul_f16_e64 v161, 0x3964, v41
	v_add_f16_e64 v137, v162, v137
	v_add_f16_e64 v162, v164, v66
	v_fma_f16 v164, 0xb461, v22, v165
	v_mul_f16_e64 v167, 0xb5c8, v26
	v_fma_f16 v166, v40, 0xbbdd, -v130
	v_add_f16_e64 v108, v136, v108
	v_fma_f16 v168, 0x39e9, v80, v161
	v_mul_f16_e64 v136, 0x3964, v129
	v_add_f16_e64 v162, v164, v162
	v_fma_f16 v164, 0x3b76, v73, v167
	v_mul_f16_e64 v170, 0xb836, v28
	v_mul_f16_e64 v169, 0xbbb2, v44
	v_add_f16_e64 v166, v166, v137
	v_add_f16_e64 v108, v168, v108
	v_fma_f16 v168, v42, 0x39e9, -v136
	v_add_f16_e64 v162, v164, v162
	v_fma_f16 v164, 0xbacd, v72, v170
	v_mul_f16_e64 v171, 0x3bf7, v30
	v_fma_f16 v172, 0xb461, v86, v169
	v_mul_f16_e64 v137, 0xbbb2, v127
	v_add_f16_e64 v166, v168, v166
	v_add_f16_e64 v162, v164, v162
	v_fma_f16 v164, 0x2de8, v74, v171
	v_mul_f16_e64 v168, 0xb964, v39
	v_add_f16_e64 v108, v172, v108
	v_fma_f16 v172, v48, 0xb461, -v137
	v_mul_f16_e64 v173, 0xba62, v85
	v_add_f16_e64 v162, v164, v162
	v_fma_f16 v164, 0x39e9, v78, v168
	v_mul_f16_e64 v174, 0xb1e1, v41
	v_add_f16_e64 v85, v172, v166
	v_fma_f16 v166, v23, 0xb8d2, -v173
	v_mul_f16_e64 v172, 0x3bb2, v82
	v_add_f16_e64 v82, v164, v162
	v_mul_f16_e64 v164, 0xb461, v67
	v_fma_f16 v162, 0xbbdd, v80, v174
	v_add_f16_e64 v166, v166, v6
	v_fma_f16 v175, v38, 0xb461, -v172
	v_mul_f16_e32 v90, 0xb5c8, v90
	v_mul_f16_e64 v176, 0xbacd, v22
	v_add_f16_e64 v145, v145, v164
	v_add_f16_e64 v82, v162, v82
	;; [unrolled: 1-line block ×3, first 2 shown]
	v_fma_f16 v164, v27, 0x3b76, -v90
	v_add_f16_e64 v146, v146, v176
	v_add_f16_e64 v145, v145, v66
	v_mul_f16_e32 v93, 0xb836, v93
	v_mul_f16_e64 v166, 0x39e9, v73
	v_add_f16_e64 v162, v164, v162
	v_mul_f16_e32 v99, 0x3bf7, v99
	v_add_f16_e64 v145, v146, v145
	v_fma_f16 v146, v29, 0xbacd, -v93
	v_add_f16_e64 v147, v147, v166
	v_mul_f16_e64 v164, 0x3722, v72
	v_mul_f16_e32 v102, 0xb964, v102
	v_mul_f16_e64 v129, 0xb1e1, v129
	v_add_f16_e64 v146, v146, v162
	v_add_f16_e64 v145, v147, v145
	v_fma_f16 v147, v37, 0x2de8, -v99
	v_add_f16_e64 v148, v148, v164
	v_mul_f16_e64 v162, 0xbbdd, v74
	v_alignbit_b32 v56, v56, v56, 16
	v_fmac_f16_e64 v157, 0xbacd, v23
	v_add_f16_e64 v146, v147, v146
	v_mul_f16_e64 v147, 0xb461, v23
	v_add_f16_e64 v145, v148, v145
	v_fma_f16 v148, v40, 0x39e9, -v102
	v_add_f16_e64 v149, v149, v162
	v_mul_f16_e64 v162, 0xbacd, v38
	v_sub_f16_e64 v71, v147, v71
	v_mul_f16_e64 v147, 0x2de8, v78
	v_add_f16_e64 v146, v148, v146
	v_fma_f16 v148, v42, 0xbbdd, -v129
	v_sub_f16_e64 v75, v162, v75
	v_add_f16_e32 v71, v71, v6
	v_add_f16_e64 v145, v149, v145
	v_mul_f16_e64 v149, 0x39e9, v27
	v_add_f16_e64 v146, v148, v146
	v_mul_f16_e64 v148, 0x3722, v29
	v_add_f16_e32 v71, v75, v71
	v_add_f16_e64 v147, v150, v147
	v_sub_f16_e64 v81, v149, v81
	v_mul_f16_e32 v75, 0x3b29, v127
	v_fmac_f16_e64 v159, 0x3722, v38
	v_fmac_f16_e64 v138, 0x2de8, v27
	v_add_f16_e64 v145, v147, v145
	v_add_f16_e32 v71, v81, v71
	v_sub_f16_e64 v81, v148, v87
	v_mul_f16_e32 v87, 0xbbdd, v37
	v_fma_f16 v147, v48, 0x3722, -v75
	v_fmac_f16_e64 v139, 0xb8d2, v29
	v_fmac_f16_e64 v134, 0x3b76, v37
	v_add_f16_e32 v71, v81, v71
	v_sub_f16_e32 v81, v87, v91
	v_mul_f16_e32 v87, 0x2de8, v67
	v_add_f16_e64 v146, v147, v146
	v_mul_f16_e32 v91, 0x2de8, v40
	v_mul_f16_e64 v147, 0xbbdd, v22
	v_add_f16_e32 v71, v81, v71
	v_add_f16_e64 v81, v131, v87
	v_alignbit_b32 v131, v6, v6, 16
	v_sub_f16_e32 v87, v91, v104
	v_mul_f16_e32 v91, 0x3b76, v42
	v_add_f16_e64 v104, v133, v147
	v_add_f16_e32 v81, v81, v66
	v_mul_f16_e64 v133, 0x39e9, v67
	v_add_f16_e32 v71, v87, v71
	v_mul_f16_e32 v87, 0xb461, v73
	v_sub_f16_e32 v91, v91, v109
	v_add_f16_e32 v81, v104, v81
	v_mul_f16_e32 v104, 0xb8d2, v48
	v_add_f16_e64 v94, v94, v133
	v_add_f16_e64 v87, v135, v87
	v_add_f16_e32 v71, v91, v71
	v_mul_f16_e32 v91, 0x3b76, v72
	v_sub_f16_e32 v104, v104, v116
	v_mul_f16_e64 v135, 0x2de8, v23
	v_add_f16_e32 v81, v87, v81
	v_mul_f16_e32 v116, 0x3722, v23
	v_add_f16_e64 v91, v140, v91
	v_add_f16_e32 v71, v104, v71
	v_mul_f16_e32 v104, 0x3722, v74
	v_sub_f16_e64 v60, v135, v60
	v_mul_f16_e32 v87, 0x3722, v67
	v_add_f16_e32 v81, v91, v81
	v_mul_f16_e32 v91, 0xbbdd, v38
	v_add_f16_e64 v104, v141, v104
	v_mul_f16_e64 v141, 0xbacd, v78
	v_add_f16_e32 v60, v60, v6
	v_mul_f16_e64 v135, 0x2de8, v22
	v_sub_f16_e32 v61, v91, v61
	v_add_f16_e32 v81, v104, v81
	v_mul_f16_e32 v104, 0xb461, v27
	v_add_f16_e64 v141, v142, v141
	v_mul_f16_e32 v91, 0xb8d2, v38
	v_add_f16_e32 v60, v61, v60
	v_mul_f16_e32 v61, 0xb8d2, v80
	v_sub_f16_e32 v65, v104, v65
	v_add_f16_e64 v81, v141, v81
	v_mul_f16_e64 v141, 0x3b76, v29
	v_sub_f16_e32 v55, v116, v55
	v_mul_f16_e64 v142, 0xb8d2, v22
	v_add_f16_e32 v60, v65, v60
	v_mul_f16_e32 v65, 0x39e9, v86
	v_sub_f16_e64 v69, v141, v69
	v_add_f16_e64 v61, v143, v61
	v_mul_f16_e64 v143, 0xb8d2, v73
	v_mul_f16_e64 v141, 0xbbdd, v27
	v_add_f16_e64 v65, v144, v65
	v_mul_f16_e64 v144, 0x3722, v37
	v_add_f16_e32 v60, v69, v60
	v_add_f16_e32 v87, v106, v87
	;; [unrolled: 1-line block ×3, first 2 shown]
	v_sub_f16_e32 v53, v91, v53
	v_sub_f16_e64 v77, v144, v77
	v_mul_f16_e64 v144, 0xbacd, v40
	v_add_f16_e64 v96, v96, v135
	v_add_f16_e32 v94, v94, v66
	v_add_f16_e32 v61, v61, v81
	v_mul_f16_e32 v81, 0xbbdd, v73
	v_mul_f16_e32 v106, 0xbbdd, v72
	v_add_f16_e64 v107, v107, v142
	v_mul_f16_e64 v142, 0xb461, v29
	v_add_f16_e32 v87, v87, v66
	v_add_f16_e32 v60, v77, v60
	v_sub_f16_e64 v88, v144, v88
	v_add_f16_e32 v53, v53, v55
	v_sub_f16_e64 v57, v141, v57
	v_add_f16_e32 v94, v96, v94
	v_add_f16_e64 v100, v100, v143
	v_mul_f16_e32 v77, 0xb461, v72
	v_add_f16_e32 v87, v107, v87
	v_mul_f16_e32 v107, 0xb8d2, v42
	v_add_f16_e32 v81, v113, v81
	v_mul_f16_e32 v113, 0xbacd, v74
	v_add_f16_e32 v60, v88, v60
	v_mul_f16_e32 v88, 0x39e9, v37
	v_add_f16_e32 v53, v57, v53
	v_sub_f16_e64 v57, v142, v59
	v_add_f16_e32 v59, v100, v94
	v_add_f16_e32 v94, v103, v106
	v_mul_f16_e32 v109, 0x3b76, v23
	v_sub_f16_e32 v92, v107, v92
	v_mul_f16_e32 v107, 0x39e9, v74
	v_add_f16_e32 v77, v121, v77
	v_mul_f16_e32 v121, 0xb461, v78
	v_add_f16_e32 v61, v65, v61
	;; [unrolled: 2-line block ×3, first 2 shown]
	v_sub_f16_e32 v57, v88, v62
	v_add_f16_e32 v59, v94, v59
	v_add_f16_e32 v62, v105, v113
	v_mul_f16_e64 v140, 0x39e9, v38
	v_mul_f16_e32 v116, 0x3722, v80
	v_add_f16_e32 v107, v125, v107
	v_mul_f16_e32 v125, 0x2de8, v42
	v_add_f16_e32 v53, v57, v53
	v_sub_f16_e32 v57, v65, v63
	v_add_f16_e32 v59, v62, v59
	v_add_f16_e32 v62, v110, v121
	v_sub_f16_e32 v51, v109, v51
	v_mul_f16_e32 v104, 0x3722, v27
	v_mul_f16_e64 v135, 0x3b76, v86
	v_mul_f16_e32 v55, 0xbacd, v48
	v_add_f16_e32 v53, v57, v53
	v_sub_f16_e32 v57, v125, v76
	v_add_f16_e32 v59, v62, v59
	v_add_f16_e32 v62, v112, v116
	;; [unrolled: 1-line block ×3, first 2 shown]
	v_sub_f16_e64 v65, v140, v83
	v_mul_f16_e32 v69, 0x2de8, v29
	v_add_f16_e32 v53, v57, v53
	v_sub_f16_e32 v55, v55, v79
	v_add_f16_e32 v57, v62, v59
	v_add_f16_e64 v59, v128, v135
	v_add_f16_e32 v51, v65, v51
	v_sub_f16_e32 v62, v104, v89
	v_mul_f16_e64 v144, 0xb461, v37
	v_add_f16_e32 v53, v55, v53
	v_add_f16_e32 v55, v59, v57
	v_sub_f16_e32 v57, v69, v95
	v_add_f16_e32 v51, v62, v51
	v_fma_f16 v59, v67, 0xbacd, -v153
	v_add_f16_e32 v81, v81, v87
	v_mul_f16_e32 v87, 0xb8d2, v40
	v_fma_f16 v62, v22, 0x3722, -v154
	v_add_f16_e32 v51, v57, v51
	v_sub_f16_e64 v57, v144, v97
	v_add_f16_e32 v59, v59, v66
	v_pk_add_f16 v7, v7, v131 op_sel:[0,1] op_sel_hi:[1,0]
	v_add_f16_e32 v77, v77, v81
	v_mul_f16_e32 v81, 0xbacd, v42
	v_add_f16_e32 v51, v57, v51
	v_sub_f16_e32 v57, v87, v98
	v_add_f16_e32 v59, v62, v59
	v_fma_f16 v62, v73, 0x2de8, -v155
	v_pk_add_f16 v7, v56, v7
	v_fmac_f16_e64 v130, 0xbbdd, v40
	v_add_f16_e32 v51, v57, v51
	v_sub_f16_e32 v57, v81, v101
	v_add_f16_e32 v59, v62, v59
	v_fma_f16 v62, v72, 0xb8d2, -v156
	v_pk_add_f16 v7, v20, v7
	v_mul_f16_e64 v175, 0x3b29, v44
	v_add_f16_e32 v51, v57, v51
	v_fma_f16 v57, v74, 0x3b76, -v158
	v_add_f16_e32 v56, v62, v59
	v_pk_add_f16 v7, v17, v7
	v_add_f16_e64 v62, v157, v6
	v_fmac_f16_e64 v136, 0x39e9, v42
	v_bfi_b32 v43, 0xffff, v43, v120
	v_add_f16_e32 v20, v57, v56
	v_fma_f16 v56, v78, 0xbbdd, -v160
	v_pk_add_f16 v7, v18, v7
	v_add_f16_e64 v57, v159, v62
	v_fmac_f16_e64 v137, 0xb461, v48
	v_bfi_b32 v50, 0xffff, v50, v122
	v_add_f16_e32 v17, v56, v20
	v_fma_f16 v20, v80, 0x39e9, -v161
	v_fma_f16 v56, v67, 0xb8d2, -v163
	v_pk_add_f16 v7, v10, v7
	v_add_f16_e64 v57, v138, v57
	v_fma_f16 v10, v72, 0xbacd, -v170
	v_add_f16_e32 v17, v20, v17
	v_add_f16_e32 v18, v56, v66
	v_fma_f16 v20, v22, 0xb461, -v165
	v_pk_add_f16 v7, v11, v7
	v_add_f16_e64 v56, v139, v57
	v_fma_f16 v11, v74, 0x2de8, -v171
	v_fmac_f16_e64 v173, 0xb8d2, v23
	v_add_f16_e32 v18, v20, v18
	v_fma_f16 v20, v73, 0x3b76, -v167
	v_pk_add_f16 v7, v8, v7
	v_add_f16_e64 v56, v134, v56
	v_fma_f16 v57, v86, 0xb461, -v169
	v_add_f16_e64 v6, v173, v6
	v_add_f16_e32 v18, v20, v18
	v_pk_add_f16 v7, v9, v7
	v_add_f16_e64 v20, v130, v56
	v_fmac_f16_e64 v172, 0xb461, v38
	v_bfi_b32 v52, 0xffff, v52, v114
	v_add_f16_e32 v10, v10, v18
	v_pk_add_f16 v4, v4, v7
	v_add_f16_e64 v9, v136, v20
	v_add_f16_e64 v6, v172, v6
	v_fmac_f16_e32 v90, 0x3b76, v27
	v_add_f16_e32 v8, v11, v10
	v_fma_f16 v10, v78, 0x39e9, -v168
	v_pk_add_f16 v4, v5, v4
	v_fma_f16 v5, v86, 0x3722, -v175
	v_pk_mul_f16 v11, 0xbacd, v27 op_sel_hi:[0,1]
	v_bfi_b32 v54, 0xffff, v54, v115
	v_add_f16_e32 v8, v10, v8
	v_fma_f16 v10, v80, 0xbbdd, -v174
	v_pk_add_f16 v2, v2, v4
	v_add_f16_e64 v4, v137, v9
	v_pk_mul_f16 v9, 0xbbdd, v23 op_sel_hi:[0,1]
	v_add_f16_e32 v6, v90, v6
	v_add_f16_e32 v7, v10, v8
	v_pk_add_f16 v2, v3, v2
	v_and_b32_e32 v3, 0xffff, v49
	v_pk_mul_f16 v10, 0x35c8, v25 op_sel_hi:[0,1]
	v_add_f16_e32 v8, v57, v17
	v_add_f16_e32 v5, v5, v7
	v_pk_add_f16 v7, v43, v131
	v_pk_add_f16 v0, v0, v2
	v_add_lshl_u32 v2, v31, v3, 2
	v_pk_mul_f16 v17, 0x39e9, v29 op_sel_hi:[0,1]
	v_fmac_f16_e32 v93, 0xbacd, v29
	v_pk_add_f16 v3, v50, v7
	v_pk_fma_f16 v7, 0xb1e1, v19, v9 op_sel:[0,0,1] op_sel_hi:[0,1,0] neg_lo:[0,1,0] neg_hi:[0,1,0]
	v_pk_add_f16 v0, v1, v0
	v_pk_fma_f16 v1, 0xb1e1, v19, v9 op_sel:[0,0,1] op_sel_hi:[0,1,0]
	v_pk_fma_f16 v9, 0x3b76, v22, v10 op_sel_hi:[0,1,1] neg_lo:[0,0,1] neg_hi:[0,0,1]
	v_pk_fma_f16 v10, 0x3b76, v22, v10 op_sel_hi:[0,1,1]
	v_pk_add_f16 v7, v7, v131
	v_pk_add_f16 v3, v52, v3
	;; [unrolled: 1-line block ×3, first 2 shown]
	v_bfi_b32 v58, 0xffff, v58, v117
	v_add_f16_e32 v60, v92, v60
	v_pk_add_f16 v7, v9, v7
	v_pk_fma_f16 v9, 0xb836, v26, v11 op_sel:[0,0,1] op_sel_hi:[0,1,0] neg_lo:[0,1,0] neg_hi:[0,1,0]
	v_pk_add_f16 v1, v10, v1
	v_pk_fma_f16 v10, 0xb836, v26, v11 op_sel:[0,0,1] op_sel_hi:[0,1,0]
	v_pk_mul_f16 v11, 0xb8d2, v37 op_sel_hi:[0,1]
	v_pk_add_f16 v3, v54, v3
	v_pk_add_f16 v7, v9, v7
	v_pk_fma_f16 v9, 0x3964, v28, v17 op_sel:[0,0,1] op_sel_hi:[0,1,0] neg_lo:[0,1,0] neg_hi:[0,1,0]
	v_pk_add_f16 v1, v10, v1
	v_pk_fma_f16 v10, 0x3964, v28, v17 op_sel:[0,0,1] op_sel_hi:[0,1,0]
	v_mul_f16_e32 v92, 0x3b76, v78
	v_mul_f16_e32 v127, 0x3b76, v80
	v_pk_add_f16 v7, v9, v7
	v_pk_fma_f16 v9, 0xba62, v30, v11 op_sel:[0,0,1] op_sel_hi:[0,1,0] neg_lo:[0,1,0] neg_hi:[0,1,0]
	v_pk_mul_f16 v17, 0x3722, v40 op_sel_hi:[0,1]
	v_pk_add_f16 v1, v10, v1
	v_pk_fma_f16 v10, 0xba62, v30, v11 op_sel:[0,0,1] op_sel_hi:[0,1,0]
	v_add_f16_e32 v6, v93, v6
	v_fmac_f16_e32 v99, 0x2de8, v37
	v_bfi_b32 v64, 0xffff, v64, v119
	v_pk_add_f16 v3, v58, v3
	v_mul_f16_e64 v133, 0x2de8, v80
	v_add_f16_e32 v77, v107, v77
	v_add_f16_e32 v92, v118, v92
	v_add_f16_e64 v127, v151, v127
	v_pk_add_f16 v7, v9, v7
	v_pk_fma_f16 v9, 0x3b29, v39, v17 op_sel:[0,0,1] op_sel_hi:[0,1,0] neg_lo:[0,1,0] neg_hi:[0,1,0]
	v_pk_mul_f16 v11, 0xb461, v42 op_sel_hi:[0,1]
	v_pk_add_f16 v1, v10, v1
	v_pk_fma_f16 v10, 0x3b29, v39, v17 op_sel:[0,0,1] op_sel_hi:[0,1,0]
	v_add_f16_e32 v6, v99, v6
	v_fmac_f16_e32 v102, 0x39e9, v40
	v_mul_f16_e32 v91, 0xbbdd, v48
	v_bfi_b32 v65, 0xffff, v68, v123
	v_pk_add_f16 v3, v64, v3
	v_mul_f16_e64 v141, 0xbacd, v86
	v_mul_f16_e32 v96, 0x39e9, v48
	v_add_f16_e32 v77, v92, v77
	v_add_f16_e64 v92, v126, v133
	v_add_f16_e64 v127, v127, v145
	v_mul_f16_e64 v145, 0xb8d2, v86
	v_pk_add_f16 v7, v9, v7
	v_pk_fma_f16 v9, 0xbbb2, v41, v11 op_sel:[0,0,1] op_sel_hi:[0,1,0] neg_lo:[0,1,0] neg_hi:[0,1,0]
	v_pk_mul_f16 v17, 0x2de8, v48 op_sel_hi:[0,1]
	v_pk_add_f16 v1, v10, v1
	v_pk_fma_f16 v10, 0xbbb2, v41, v11 op_sel:[0,0,1] op_sel_hi:[0,1,0]
	v_add_f16_e32 v6, v102, v6
	v_fmac_f16_e64 v129, 0xbbdd, v42
	v_bfi_b32 v68, 0xffff, v70, v124
	v_sub_f16_e32 v59, v91, v111
	v_pk_add_f16 v3, v65, v3
	v_sub_f16_e32 v84, v96, v84
	v_add_f16_e32 v77, v92, v77
	v_add_f16_e64 v63, v132, v141
	v_fma_f16 v166, 0x3722, v86, v175
	v_add_f16_e64 v145, v152, v145
	v_pk_add_f16 v7, v9, v7
	v_pk_fma_f16 v9, 0x3bf7, v44, v17 op_sel:[0,0,1] op_sel_hi:[0,1,0] neg_lo:[0,1,0] neg_hi:[0,1,0]
	v_pk_add_f16 v1, v10, v1
	v_pk_fma_f16 v10, 0x3bf7, v44, v17 op_sel:[0,0,1] op_sel_hi:[0,1,0]
	v_add_f16_e64 v6, v129, v6
	v_fmac_f16_e32 v75, 0x3722, v48
	v_add_f16_e32 v51, v59, v51
	v_pk_add_f16 v3, v68, v3
	v_add_f16_e32 v60, v84, v60
	v_add_f16_e32 v63, v63, v77
	v_add_f16_e64 v82, v166, v82
	v_add_f16_e64 v127, v145, v127
	v_pk_add_f16 v0, v21, v0
	v_pack_b32_f16 v18, v85, v108
	v_pk_add_f16 v7, v9, v7
	v_pk_add_f16 v1, v10, v1
	v_add_f16_e32 v6, v75, v6
	v_alignbit_b32 v11, v55, v3, 16
	v_pack_b32_f16 v3, v51, v3
	v_pack_b32_f16 v17, v60, v61
	;; [unrolled: 1-line block ×5, first 2 shown]
	ds_store_2addr_b32 v2, v0, v18 offset1:7
	v_alignbit_b32 v0, v7, v1, 16
	v_alignbit_b32 v1, v1, v7, 16
	v_pack_b32_f16 v5, v6, v5
	v_pack_b32_f16 v4, v4, v8
	v_perm_b32 v6, v35, v13, 0x5040100
	v_perm_b32 v7, v32, v12, 0x5040100
	;; [unrolled: 1-line block ×5, first 2 shown]
	ds_store_2addr_b32 v2, v3, v11 offset0:1 offset1:2
	ds_store_2addr_b32 v2, v9, v17 offset0:3 offset1:4
	;; [unrolled: 1-line block ×7, first 2 shown]
	ds_store_b32 v2, v20 offset:64
.LBB0_7:
	s_wait_alu 0xfffe
	s_or_b32 exec_lo, exec_lo, s0
	v_add_lshl_u32 v50, v31, v46, 2
	global_wb scope:SCOPE_SE
	s_wait_dscnt 0x0
	s_barrier_signal -1
	s_barrier_wait -1
	global_inv scope:SCOPE_SE
	v_add_nc_u32_e32 v0, 0x200, v50
	v_add_nc_u32_e32 v1, 0x600, v50
	;; [unrolled: 1-line block ×5, first 2 shown]
	ds_load_2addr_b32 v[18:19], v50 offset1:102
	ds_load_2addr_b32 v[29:30], v0 offset0:93 offset1:195
	ds_load_2addr_b32 v[27:28], v1 offset0:58 offset1:160
	;; [unrolled: 1-line block ×5, first 2 shown]
	v_cmp_gt_u16_e64 s0, 17, v46
                                        ; implicit-def: $vgpr37
	s_delay_alu instid0(VALU_DEP_1)
	s_and_saveexec_b32 s1, s0
	s_cbranch_execz .LBB0_9
; %bb.8:
	v_add_nc_u32_e32 v0, 0x300, v50
	v_add_nc_u32_e32 v1, 0xa00, v50
	;; [unrolled: 1-line block ×3, first 2 shown]
	ds_load_2addr_b32 v[12:13], v0 offset0:12 offset1:233
	ds_load_2addr_b32 v[14:15], v1 offset0:6 offset1:227
	ds_load_2addr_b32 v[16:17], v2 offset1:221
	s_wait_dscnt 0x2
	v_lshrrev_b32_e32 v32, 16, v12
	v_lshrrev_b32_e32 v35, 16, v13
	s_wait_dscnt 0x1
	v_lshrrev_b32_e32 v34, 16, v14
	v_lshrrev_b32_e32 v33, 16, v15
	;; [unrolled: 3-line block ×3, first 2 shown]
.LBB0_9:
	s_wait_alu 0xfffe
	s_or_b32 exec_lo, exec_lo, s1
	v_and_b32_e32 v0, 0xff, v46
	v_add_nc_u16 v2, v46, 0x66
	v_add_nc_u32_e32 v3, 0xcc, v46
	s_wait_dscnt 0x3
	v_lshrrev_b32_e32 v48, 16, v27
	s_wait_dscnt 0x2
	v_lshrrev_b32_e32 v62, 16, v25
	v_mul_lo_u16 v0, 0xf1, v0
	s_wait_dscnt 0x1
	v_lshrrev_b32_e32 v63, 16, v22
	v_and_b32_e32 v1, 0xffff, v3
	s_wait_dscnt 0x0
	v_lshrrev_b32_e32 v64, 16, v20
	v_lshrrev_b32_e32 v66, 16, v30
	v_lshrrev_b16 v40, 12, v0
	v_and_b32_e32 v0, 0xff, v2
	v_mul_u32_u24_e32 v1, 0xf0f1, v1
	v_lshrrev_b32_e32 v67, 16, v28
	v_lshrrev_b32_e32 v68, 16, v26
	v_mul_lo_u16 v4, v40, 17
	v_mul_lo_u16 v0, 0xf1, v0
	v_and_b32_e32 v40, 0xffff, v40
	v_lshrrev_b32_e32 v65, 16, v19
	s_delay_alu instid0(VALU_DEP_4) | instskip(NEXT) | instid1(VALU_DEP_4)
	v_sub_nc_u16 v4, v46, v4
	v_lshrrev_b16 v41, 12, v0
	v_lshrrev_b32_e32 v0, 20, v1
	v_mul_u32_u24_e32 v40, 0x66, v40
	s_delay_alu instid0(VALU_DEP_4) | instskip(NEXT) | instid1(VALU_DEP_4)
	v_and_b32_e32 v42, 0xff, v4
	v_mul_lo_u16 v4, v41, 17
	s_delay_alu instid0(VALU_DEP_4) | instskip(SKIP_1) | instid1(VALU_DEP_4)
	v_mul_lo_u16 v5, v0, 17
	v_and_b32_e32 v41, 0xffff, v41
	v_mad_co_u64_u32 v[0:1], null, v42, 20, s[2:3]
	s_delay_alu instid0(VALU_DEP_4) | instskip(NEXT) | instid1(VALU_DEP_4)
	v_sub_nc_u16 v2, v2, v4
	v_sub_nc_u16 v43, v3, v5
	s_delay_alu instid0(VALU_DEP_4)
	v_mul_u32_u24_e32 v41, 0x66, v41
	v_add_nc_u32_e32 v40, v40, v42
	v_lshrrev_b32_e32 v42, 16, v23
	v_and_b32_e32 v44, 0xff, v2
	v_mul_lo_u16 v2, v43, 20
	s_clause 0x1
	global_load_b128 v[8:11], v[0:1], off
	global_load_b32 v54, v[0:1], off offset:16
	v_and_b32_e32 v52, 0xffff, v43
	v_mad_co_u64_u32 v[0:1], null, v44, 20, s[2:3]
	v_and_b32_e32 v2, 0xffff, v2
	v_add_nc_u32_e32 v41, v41, v44
	v_lshrrev_b32_e32 v44, 16, v21
	v_add_lshl_u32 v61, v31, v40, 2
	s_delay_alu instid0(VALU_DEP_4)
	v_add_co_u32 v38, s1, s2, v2
	s_wait_alu 0xf1ff
	v_add_co_ci_u32_e64 v39, null, s3, 0, s1
	s_clause 0x3
	global_load_b128 v[4:7], v[0:1], off
	global_load_b32 v53, v[0:1], off offset:16
	global_load_b128 v[0:3], v[38:39], off
	global_load_b32 v51, v[38:39], off offset:16
	v_lshrrev_b32_e32 v39, 16, v29
	v_add_lshl_u32 v60, v31, v41, 2
	v_lshrrev_b32_e32 v38, 16, v18
	s_load_b128 s[4:7], s[4:5], 0x0
	global_wb scope:SCOPE_SE
	s_wait_loadcnt 0x0
	s_wait_kmcnt 0x0
	s_barrier_signal -1
	s_barrier_wait -1
	global_inv scope:SCOPE_SE
	v_lshrrev_b32_e32 v85, 16, v8
	v_lshrrev_b32_e32 v84, 16, v9
	;; [unrolled: 1-line block ×5, first 2 shown]
	v_mul_f16_e32 v40, v39, v85
	v_mul_f16_e32 v41, v29, v85
	;; [unrolled: 1-line block ×10, first 2 shown]
	v_lshrrev_b32_e32 v81, 16, v4
	v_lshrrev_b32_e32 v79, 16, v5
	v_lshrrev_b32_e32 v78, 16, v6
	v_lshrrev_b32_e32 v77, 16, v7
	v_lshrrev_b32_e32 v76, 16, v53
	v_lshrrev_b32_e32 v57, 16, v0
	v_lshrrev_b32_e32 v55, 16, v1
	v_lshrrev_b32_e32 v59, 16, v2
	v_lshrrev_b32_e32 v56, 16, v3
	v_lshrrev_b32_e32 v58, 16, v51
	v_fma_f16 v29, v29, v8, -v40
	v_fmac_f16_e32 v41, v39, v8
	v_fma_f16 v27, v27, v9, -v43
	v_fmac_f16_e32 v69, v48, v9
	;; [unrolled: 2-line block ×5, first 2 shown]
	v_mul_f16_e32 v39, v66, v81
	v_mul_f16_e32 v40, v30, v81
	;; [unrolled: 1-line block ×19, first 2 shown]
	v_fma_f16 v30, v30, v4, -v39
	v_fmac_f16_e32 v40, v66, v4
	v_fma_f16 v28, v28, v5, -v43
	v_fmac_f16_e32 v48, v67, v5
	;; [unrolled: 2-line block ×5, first 2 shown]
	v_add_f16_e32 v39, v18, v27
	v_add_f16_e32 v42, v27, v22
	v_sub_f16_e32 v43, v69, v73
	v_add_f16_e32 v44, v38, v69
	v_add_f16_e32 v62, v69, v73
	;; [unrolled: 1-line block ×4, first 2 shown]
	v_mul_f16_e32 v89, v14, v55
	v_add_f16_e32 v64, v29, v25
	v_sub_f16_e32 v67, v71, v75
	v_add_f16_e32 v68, v41, v71
	v_fma_f16 v71, v13, v0, -v86
	v_fma_f16 v13, v14, v1, -v88
	;; [unrolled: 1-line block ×3, first 2 shown]
	v_fmac_f16_e32 v91, v33, v2
	v_fma_f16 v15, v16, v3, -v92
	v_fma_f16 v16, v17, v51, -v94
	v_fmac_f16_e32 v95, v37, v51
	v_sub_f16_e32 v27, v27, v22
	v_sub_f16_e32 v25, v25, v20
	v_fmac_f16_e32 v87, v35, v0
	v_fmac_f16_e32 v93, v36, v3
	v_add_f16_e32 v17, v39, v22
	v_fma_f16 v18, -0.5, v42, v18
	v_add_f16_e32 v22, v44, v73
	v_fmac_f16_e32 v38, -0.5, v62
	v_fmac_f16_e32 v29, -0.5, v66
	;; [unrolled: 1-line block ×3, first 2 shown]
	v_add_f16_e32 v35, v28, v23
	v_sub_f16_e32 v36, v48, v70
	v_add_f16_e32 v37, v65, v48
	v_add_f16_e32 v39, v48, v70
	;; [unrolled: 1-line block ×3, first 2 shown]
	v_sub_f16_e32 v48, v63, v74
	v_add_f16_e32 v62, v40, v63
	v_add_f16_e32 v63, v63, v74
	v_fmac_f16_e32 v89, v34, v1
	v_add_f16_e32 v20, v64, v20
	v_add_f16_e32 v33, v68, v75
	v_add_f16_e32 v34, v19, v28
	v_add_f16_e32 v42, v30, v26
	v_add_f16_e32 v86, v14, v16
	v_add_f16_e32 v90, v91, v95
	v_sub_f16_e32 v28, v28, v23
	v_sub_f16_e32 v26, v26, v21
	v_fmamk_f16 v92, v43, 0x3aee, v18
	v_fmac_f16_e32 v18, 0xbaee, v43
	v_fmamk_f16 v43, v27, 0xbaee, v38
	v_fmac_f16_e32 v38, 0x3aee, v27
	;; [unrolled: 2-line block ×3, first 2 shown]
	v_fmamk_f16 v67, v25, 0xbaee, v41
	v_fmac_f16_e32 v19, -0.5, v35
	v_fmac_f16_e32 v65, -0.5, v39
	;; [unrolled: 1-line block ×4, first 2 shown]
	v_fmac_f16_e32 v41, 0x3aee, v25
	v_add_f16_e32 v66, v13, v15
	v_sub_f16_e32 v68, v89, v93
	v_add_f16_e32 v69, v32, v89
	v_add_f16_e32 v72, v89, v93
	;; [unrolled: 1-line block ×3, first 2 shown]
	v_sub_f16_e32 v88, v91, v95
	v_add_f16_e32 v89, v87, v91
	v_sub_f16_e32 v91, v14, v16
	v_add_f16_e32 v25, v17, v20
	v_add_f16_e32 v94, v22, v33
	v_sub_f16_e32 v17, v17, v20
	v_sub_f16_e32 v20, v22, v33
	v_add_f16_e32 v22, v34, v23
	v_add_f16_e32 v23, v37, v70
	;; [unrolled: 1-line block ×4, first 2 shown]
	v_fmac_f16_e32 v71, -0.5, v86
	v_fmac_f16_e32 v87, -0.5, v90
	v_mul_f16_e32 v34, 0x3aee, v67
	v_mul_f16_e32 v35, -0.5, v29
	v_fmamk_f16 v42, v36, 0x3aee, v19
	v_fmac_f16_e32 v19, 0xbaee, v36
	v_fmamk_f16 v36, v28, 0xbaee, v65
	v_fmac_f16_e32 v65, 0x3aee, v28
	v_fmamk_f16 v28, v48, 0x3aee, v30
	v_fmamk_f16 v44, v26, 0xbaee, v40
	v_add_f16_e32 v64, v12, v13
	v_mul_f16_e32 v39, -0.5, v41
	v_fmac_f16_e32 v30, 0xbaee, v48
	v_fmac_f16_e32 v40, 0x3aee, v26
	v_fmac_f16_e32 v12, -0.5, v66
	v_mul_f16_e32 v37, 0xbaee, v27
	v_add_f16_e32 v26, v22, v21
	v_sub_f16_e32 v21, v22, v21
	v_sub_f16_e32 v22, v23, v33
	v_fmamk_f16 v62, v88, 0x3aee, v71
	v_fmac_f16_e32 v71, 0xbaee, v88
	v_fmamk_f16 v63, v91, 0xbaee, v87
	v_fmac_f16_e32 v87, 0x3aee, v91
	v_fmac_f16_e32 v34, 0.5, v27
	v_fmac_f16_e32 v35, 0x3aee, v41
	v_mul_f16_e32 v27, 0x3aee, v44
	v_mul_f16_e32 v41, 0xbaee, v28
	v_sub_f16_e32 v73, v13, v15
	v_add_f16_e32 v13, v64, v15
	v_fmac_f16_e32 v39, 0xbaee, v29
	v_mul_f16_e32 v29, -0.5, v30
	v_mul_f16_e32 v64, -0.5, v40
	v_fmac_f16_e32 v32, -0.5, v72
	v_add_f16_e32 v48, v23, v33
	v_pack_b32_f16 v17, v17, v20
	v_fmamk_f16 v20, v68, 0x3aee, v12
	v_fmac_f16_e32 v12, 0xbaee, v68
	v_fmac_f16_e32 v37, 0.5, v67
	v_pack_b32_f16 v21, v21, v22
	v_mul_f16_e32 v22, 0x3aee, v63
	v_mul_f16_e32 v66, -0.5, v71
	v_mul_f16_e32 v67, 0xbaee, v62
	v_mul_f16_e32 v68, -0.5, v87
	v_fmac_f16_e32 v27, 0.5, v28
	v_fmac_f16_e32 v41, 0.5, v44
	v_fmac_f16_e32 v29, 0x3aee, v40
	v_fmac_f16_e32 v64, 0xbaee, v30
	v_add_f16_e32 v14, v69, v93
	v_add_f16_e32 v15, v75, v16
	;; [unrolled: 1-line block ×3, first 2 shown]
	v_fmamk_f16 v33, v73, 0xbaee, v32
	v_fmac_f16_e32 v32, 0x3aee, v73
	v_pack_b32_f16 v48, v26, v48
	v_add_f16_e32 v26, v92, v34
	v_add_f16_e32 v69, v18, v35
	;; [unrolled: 1-line block ×4, first 2 shown]
	v_fmac_f16_e32 v22, 0.5, v62
	v_fmac_f16_e32 v66, 0x3aee, v87
	v_fmac_f16_e32 v67, 0.5, v63
	v_fmac_f16_e32 v68, 0xbaee, v71
	v_sub_f16_e32 v34, v92, v34
	v_sub_f16_e32 v18, v18, v35
	;; [unrolled: 1-line block ×4, first 2 shown]
	v_add_f16_e32 v30, v42, v27
	v_add_f16_e32 v39, v36, v41
	;; [unrolled: 1-line block ×4, first 2 shown]
	v_sub_f16_e32 v42, v42, v27
	v_sub_f16_e32 v19, v19, v29
	;; [unrolled: 1-line block ×4, first 2 shown]
	v_pack_b32_f16 v23, v25, v94
	v_sub_f16_e32 v25, v13, v15
	v_sub_f16_e32 v86, v14, v16
	v_pack_b32_f16 v41, v26, v70
	v_pack_b32_f16 v43, v69, v72
	v_add_f16_e32 v27, v20, v22
	v_add_f16_e32 v28, v12, v66
	;; [unrolled: 1-line block ×4, first 2 shown]
	v_sub_f16_e32 v26, v20, v22
	v_sub_f16_e32 v74, v12, v66
	;; [unrolled: 1-line block ×4, first 2 shown]
	v_pack_b32_f16 v34, v34, v35
	v_pack_b32_f16 v18, v18, v37
	;; [unrolled: 1-line block ×6, first 2 shown]
	ds_store_2addr_b32 v61, v23, v41 offset1:17
	ds_store_2addr_b32 v61, v43, v17 offset0:34 offset1:51
	ds_store_2addr_b32 v61, v34, v18 offset0:68 offset1:85
	ds_store_2addr_b32 v60, v48, v12 offset1:17
	ds_store_2addr_b32 v60, v20, v21 offset0:34 offset1:51
	ds_store_2addr_b32 v60, v22, v19 offset0:68 offset1:85
	s_and_saveexec_b32 s1, s0
	s_cbranch_execz .LBB0_11
; %bb.10:
	v_add_f16_e32 v12, v14, v16
	v_add_f16_e32 v13, v13, v15
	v_add_lshl_u32 v14, v31, v52, 2
	v_perm_b32 v15, v89, v27, 0x5040100
	v_perm_b32 v16, v88, v28, 0x5040100
	;; [unrolled: 1-line block ×3, first 2 shown]
	v_pack_b32_f16 v12, v13, v12
	v_add_nc_u32_e32 v13, 0x1000, v14
	v_perm_b32 v18, v87, v26, 0x5040100
	v_perm_b32 v19, v75, v74, 0x5040100
	v_add_nc_u32_e32 v14, 0x1400, v14
	ds_store_2addr_b32 v13, v12, v15 offset0:200 offset1:217
	ds_store_2addr_b32 v13, v16, v17 offset0:234 offset1:251
	;; [unrolled: 1-line block ×3, first 2 shown]
.LBB0_11:
	s_wait_alu 0xfffe
	s_or_b32 exec_lo, exec_lo, s1
	v_mad_co_u64_u32 v[12:13], null, v46, 48, s[2:3]
	global_wb scope:SCOPE_SE
	s_wait_dscnt 0x0
	s_barrier_signal -1
	s_barrier_wait -1
	global_inv scope:SCOPE_SE
	v_add_nc_u32_e32 v31, 0x200, v50
	v_add_nc_u32_e32 v32, 0x400, v50
	s_clause 0x2
	global_load_b128 v[20:23], v[12:13], off offset:340
	global_load_b128 v[16:19], v[12:13], off offset:356
	;; [unrolled: 1-line block ×3, first 2 shown]
	ds_load_2addr_b32 v[29:30], v50 offset1:102
	v_add_nc_u32_e32 v33, 0x800, v50
	ds_load_b32 v98, v50 offset:4896
	ds_load_2addr_b32 v[39:40], v31 offset0:76 offset1:178
	v_add_nc_u32_e32 v31, 0xc00, v50
	ds_load_2addr_b32 v[41:42], v32 offset0:152 offset1:254
	v_add_nc_u32_e32 v32, 0xe00, v50
	ds_load_2addr_b32 v[92:93], v33 offset0:100 offset1:202
	ds_load_2addr_b32 v[94:95], v31 offset0:48 offset1:150
	;; [unrolled: 1-line block ×3, first 2 shown]
	s_wait_dscnt 0x6
	v_lshrrev_b32_e32 v33, 16, v30
	v_lshrrev_b32_e32 v43, 16, v29
	s_wait_dscnt 0x4
	v_lshrrev_b32_e32 v44, 16, v39
	v_lshrrev_b32_e32 v91, 16, v40
	;; [unrolled: 1-line block ×3, first 2 shown]
	s_wait_dscnt 0x3
	v_lshrrev_b32_e32 v100, 16, v41
	s_wait_dscnt 0x2
	v_lshrrev_b32_e32 v102, 16, v92
	v_lshrrev_b32_e32 v103, 16, v93
	;; [unrolled: 1-line block ×3, first 2 shown]
	s_wait_dscnt 0x1
	v_lshrrev_b32_e32 v104, 16, v94
	v_lshrrev_b32_e32 v105, 16, v95
	s_wait_dscnt 0x0
	v_lshrrev_b32_e32 v106, 16, v96
	v_lshrrev_b32_e32 v107, 16, v97
	s_wait_loadcnt 0x2
	v_lshrrev_b32_e32 v73, 16, v20
	v_lshrrev_b32_e32 v72, 16, v21
	s_wait_loadcnt 0x1
	v_lshrrev_b32_e32 v68, 16, v17
	v_lshrrev_b32_e32 v67, 16, v18
	;; [unrolled: 1-line block ×3, first 2 shown]
	v_mul_f16_e32 v108, v33, v73
	v_mul_f16_e32 v109, v30, v73
	;; [unrolled: 1-line block ×6, first 2 shown]
	v_fma_f16 v108, v30, v20, -v108
	v_fmac_f16_e32 v109, v33, v20
	v_lshrrev_b32_e32 v70, 16, v23
	s_wait_loadcnt 0x0
	v_lshrrev_b32_e32 v65, 16, v12
	v_lshrrev_b32_e32 v63, 16, v15
	v_mul_f16_e32 v112, v91, v71
	v_mul_f16_e32 v113, v40, v71
	v_mul_f16_e32 v31, v92, v68
	v_mul_f16_e32 v32, v93, v67
	v_fma_f16 v110, v39, v21, -v110
	v_fmac_f16_e32 v111, v44, v21
	v_fma_f16 v30, v92, v17, -v116
	v_fma_f16 v33, v93, v18, -v117
	v_add_f16_e32 v92, v29, v108
	v_add_f16_e32 v93, v43, v109
	v_lshrrev_b32_e32 v69, 16, v16
	v_lshrrev_b32_e32 v66, 16, v19
	;; [unrolled: 1-line block ×4, first 2 shown]
	v_mul_f16_e32 v114, v100, v70
	v_mul_f16_e32 v90, v41, v70
	;; [unrolled: 1-line block ×5, first 2 shown]
	v_fma_f16 v112, v40, v22, -v112
	v_fmac_f16_e32 v113, v91, v22
	v_add_f16_e32 v92, v92, v110
	v_add_f16_e32 v93, v93, v111
	v_mul_f16_e32 v115, v101, v69
	v_mul_f16_e32 v48, v42, v69
	;; [unrolled: 1-line block ×8, first 2 shown]
	v_fma_f16 v114, v41, v23, -v114
	v_fmac_f16_e32 v90, v100, v23
	v_fmac_f16_e32 v34, v105, v12
	v_fma_f16 v39, v98, v15, -v122
	v_fmac_f16_e32 v37, v99, v15
	v_add_f16_e32 v92, v92, v112
	v_add_f16_e32 v93, v93, v113
	v_mul_f16_e32 v35, v96, v64
	v_fma_f16 v91, v42, v16, -v115
	v_fmac_f16_e32 v48, v101, v16
	v_fma_f16 v44, v94, v19, -v118
	v_fmac_f16_e32 v38, v104, v19
	v_fma_f16 v42, v95, v12, -v119
	v_fma_f16 v41, v96, v13, -v120
	;; [unrolled: 1-line block ×3, first 2 shown]
	v_fmac_f16_e32 v36, v107, v14
	v_add_f16_e32 v95, v109, v37
	v_sub_f16_e32 v96, v108, v39
	v_sub_f16_e32 v97, v109, v37
	v_add_f16_e32 v107, v90, v34
	v_sub_f16_e32 v109, v90, v34
	v_add_f16_e32 v92, v92, v114
	v_add_f16_e32 v90, v93, v90
	v_fmac_f16_e32 v31, v102, v17
	v_fmac_f16_e32 v35, v106, v13
	v_add_f16_e32 v94, v108, v39
	v_add_f16_e32 v98, v110, v40
	;; [unrolled: 1-line block ×3, first 2 shown]
	v_sub_f16_e32 v100, v110, v40
	v_sub_f16_e32 v101, v111, v36
	v_add_f16_e32 v115, v91, v44
	v_add_f16_e32 v116, v48, v38
	v_sub_f16_e32 v117, v91, v44
	v_sub_f16_e32 v118, v48, v38
	v_mul_f16_e32 v110, 0xb770, v97
	v_mul_f16_e32 v111, 0xb770, v96
	;; [unrolled: 1-line block ×3, first 2 shown]
	v_add_f16_e32 v91, v92, v91
	v_add_f16_e32 v48, v90, v48
	v_fmac_f16_e32 v32, v103, v18
	v_add_f16_e32 v102, v112, v41
	v_add_f16_e32 v103, v113, v35
	v_sub_f16_e32 v104, v112, v41
	v_sub_f16_e32 v105, v113, v35
	v_mul_f16_e32 v120, 0xba95, v96
	v_mul_f16_e32 v121, 0xbbf1, v97
	;; [unrolled: 1-line block ×10, first 2 shown]
	v_mul_f16_e64 v128, 0xba95, v100
	v_mul_f16_e64 v129, 0xbb7b, v101
	v_fma_f16 v112, v94, 0x3b15, -v110
	v_fmamk_f16 v113, v95, 0x3b15, v111
	v_fma_f16 v163, v94, 0x388b, -v119
	v_add_f16_e32 v91, v91, v30
	v_add_f16_e32 v48, v48, v31
	v_sub_f16_e32 v108, v114, v42
	v_mul_f16_e64 v130, 0xbb7b, v100
	v_mul_f16_e64 v131, 0xb3a8, v101
	;; [unrolled: 1-line block ×7, first 2 shown]
	v_mul_f16_e32 v101, 0x3770, v101
	v_mul_f16_e32 v100, 0x3770, v100
	v_mul_f16_e64 v138, 0xbbf1, v104
	v_mul_f16_e64 v139, 0xb3a8, v105
	v_fmac_f16_e32 v110, 0x3b15, v94
	v_fma_f16 v111, v95, 0x3b15, -v111
	v_fma_f16 v164, 0x388b, v95, v120
	v_fmac_f16_e32 v119, 0x388b, v94
	v_fma_f16 v120, v95, 0x388b, -v120
	v_fma_f16 v165, v94, 0x2fb7, -v121
	v_fma_f16 v166, 0x2fb7, v95, v122
	v_fmac_f16_e32 v121, 0x2fb7, v94
	v_fma_f16 v122, v95, 0x2fb7, -v122
	;; [unrolled: 4-line block ×5, first 2 shown]
	v_fma_f16 v95, v98, 0x388b, -v127
	v_fma_f16 v96, 0x388b, v99, v128
	v_fma_f16 v173, v98, 0xb5ac, -v129
	v_add_f16_e32 v93, v29, v112
	v_add_f16_e32 v112, v43, v113
	v_add_f16_e64 v113, v29, v163
	v_add_f16_e32 v91, v91, v33
	v_add_f16_e32 v48, v48, v32
	;; [unrolled: 1-line block ×3, first 2 shown]
	v_mul_f16_e64 v137, 0xbbf1, v105
	v_mul_f16_e64 v140, 0xb3a8, v104
	;; [unrolled: 1-line block ×8, first 2 shown]
	v_mul_f16_e32 v105, 0xb94e, v105
	v_mul_f16_e32 v104, 0xb94e, v104
	v_mul_f16_e64 v148, 0xbb7b, v108
	v_mul_f16_e64 v149, 0x394e, v109
	v_fmac_f16_e32 v127, 0x388b, v98
	v_fma_f16 v128, v99, 0x388b, -v128
	v_fmac_f16_e64 v129, 0xb5ac, v98
	v_fma_f16 v175, v98, 0xbbc4, -v131
	v_fma_f16 v176, 0xbbc4, v99, v132
	v_fmac_f16_e64 v131, 0xbbc4, v98
	v_fma_f16 v177, v98, 0xb9fd, -v133
	v_fmac_f16_e64 v133, 0xb9fd, v98
	v_fma_f16 v179, v98, 0x2fb7, -v135
	;; [unrolled: 2-line block ×3, first 2 shown]
	v_fma_f16 v182, 0x3b15, v99, v100
	v_fmac_f16_e32 v101, 0x3b15, v98
	v_fma_f16 v98, v99, 0x3b15, -v100
	v_fma_f16 v100, 0x2fb7, v103, v138
	v_fma_f16 v183, v102, 0xbbc4, -v139
	v_add_f16_e32 v111, v43, v111
	v_add_f16_e64 v114, v43, v164
	v_add_f16_e32 v119, v29, v119
	v_add_f16_e64 v164, v43, v166
	v_add_f16_e32 v90, v95, v93
	v_add_f16_e32 v92, v96, v112
	v_add_f16_e64 v95, v173, v113
	v_add_f16_e32 v44, v91, v44
	v_add_f16_e32 v38, v48, v38
	v_mul_f16_e64 v147, 0xbb7b, v109
	v_mul_f16_e64 v150, 0x394e, v108
	;; [unrolled: 1-line block ×8, first 2 shown]
	v_mul_f16_e32 v109, 0x3a95, v109
	v_mul_f16_e32 v108, 0x3a95, v108
	v_mul_f16_e64 v158, 0xb94e, v117
	v_mul_f16_e64 v159, 0x3bf1, v118
	v_fma_f16 v174, 0xb5ac, v99, v130
	v_fma_f16 v130, v99, 0xb5ac, -v130
	v_fma_f16 v132, v99, 0xbbc4, -v132
	v_fma_f16 v178, 0xb9fd, v99, v134
	v_fma_f16 v134, v99, 0xb9fd, -v134
	v_fma_f16 v180, 0x2fb7, v99, v136
	v_fma_f16 v136, v99, 0x2fb7, -v136
	v_fma_f16 v99, v102, 0x2fb7, -v137
	v_fmac_f16_e64 v137, 0x2fb7, v102
	v_fma_f16 v138, v103, 0x2fb7, -v138
	v_fmac_f16_e64 v139, 0xbbc4, v102
	v_fma_f16 v185, v102, 0xb5ac, -v141
	v_fma_f16 v186, 0xb5ac, v103, v142
	v_fmac_f16_e64 v141, 0xb5ac, v102
	v_fma_f16 v187, v102, 0x3b15, -v143
	v_fmac_f16_e64 v143, 0x3b15, v102
	v_fma_f16 v189, v102, 0x388b, -v145
	;; [unrolled: 2-line block ×3, first 2 shown]
	v_fma_f16 v192, 0xb9fd, v103, v104
	v_fmac_f16_e32 v105, 0xb9fd, v102
	v_fma_f16 v102, v103, 0xb9fd, -v104
	v_fma_f16 v104, 0xb5ac, v107, v148
	v_fma_f16 v193, v106, 0xb9fd, -v149
	v_add_f16_e32 v110, v29, v110
	v_add_f16_e32 v120, v43, v120
	v_add_f16_e64 v163, v29, v165
	v_add_f16_e32 v121, v29, v121
	v_add_f16_e32 v122, v43, v122
	v_add_f16_e64 v165, v29, v167
	v_add_f16_e64 v166, v43, v168
	v_add_f16_e32 v123, v29, v123
	v_add_f16_e32 v124, v43, v124
	v_add_f16_e64 v167, v29, v169
	;; [unrolled: 4-line block ×4, first 2 shown]
	v_add_f16_e64 v97, v129, v119
	v_add_f16_e64 v112, v176, v164
	v_add_f16_e32 v92, v100, v92
	v_add_f16_e64 v95, v183, v95
	v_add_f16_e32 v42, v44, v42
	v_add_f16_e32 v34, v38, v34
	v_mul_f16_e64 v162, 0xba95, v117
	v_fma_f16 v184, 0xbbc4, v103, v140
	v_fma_f16 v140, v103, 0xbbc4, -v140
	v_fma_f16 v142, v103, 0xb5ac, -v142
	v_fma_f16 v188, 0x3b15, v103, v144
	v_fma_f16 v144, v103, 0x3b15, -v144
	v_fma_f16 v190, 0x388b, v103, v146
	v_fma_f16 v146, v103, 0x388b, -v146
	v_fma_f16 v103, v106, 0xb5ac, -v147
	v_fmac_f16_e64 v147, 0xb5ac, v106
	v_fma_f16 v148, v107, 0xb5ac, -v148
	v_fmac_f16_e64 v149, 0xb9fd, v106
	v_fma_f16 v195, v106, 0x3b15, -v151
	v_fma_f16 v196, 0x3b15, v107, v152
	v_fmac_f16_e64 v151, 0x3b15, v106
	v_fma_f16 v197, v106, 0x2fb7, -v153
	v_fmac_f16_e64 v153, 0x2fb7, v106
	v_fma_f16 v199, v106, 0xbbc4, -v155
	;; [unrolled: 2-line block ×3, first 2 shown]
	v_fma_f16 v202, 0x388b, v107, v108
	v_fmac_f16_e32 v109, 0x388b, v106
	v_fma_f16 v106, v107, 0x388b, -v108
	v_fma_f16 v108, 0xb9fd, v116, v158
	v_fma_f16 v203, v115, 0x2fb7, -v159
	v_add_f16_e32 v93, v127, v110
	v_add_f16_e64 v96, v174, v114
	v_add_f16_e64 v110, v130, v120
	;; [unrolled: 1-line block ×7, first 2 shown]
	v_add_f16_e32 v92, v104, v92
	v_add_f16_e64 v95, v193, v95
	v_add_f16_e32 v41, v42, v41
	v_add_f16_e32 v34, v34, v35
	v_fma_f16 v152, v107, 0x3b15, -v152
	v_fma_f16 v198, 0x2fb7, v107, v154
	v_fma_f16 v158, v116, 0xb9fd, -v158
	v_fmac_f16_e64 v159, 0x2fb7, v115
	v_add_f16_e64 v122, v134, v124
	v_add_f16_e32 v43, v98, v43
	v_add_f16_e64 v98, v140, v110
	v_add_f16_e64 v110, v142, v114
	;; [unrolled: 1-line block ×6, first 2 shown]
	v_add_f16_e32 v42, v108, v92
	v_add_f16_e32 v40, v41, v40
	v_add_f16_e32 v34, v34, v36
	v_add_f16_e64 v41, v203, v95
	v_fma_f16 v92, 0x388b, v116, v162
	v_mul_f16_e32 v95, 0x33a8, v117
	v_mul_f16_e64 v157, 0xb94e, v118
	v_mul_f16_e64 v160, 0x3bf1, v117
	v_fma_f16 v194, 0xb9fd, v107, v150
	v_fma_f16 v154, v107, 0x2fb7, -v154
	v_add_f16_e64 v111, v175, v163
	v_add_f16_e64 v113, v131, v121
	;; [unrolled: 1-line block ×8, first 2 shown]
	v_add_f16_e32 v43, v102, v43
	v_add_f16_e64 v102, v152, v110
	v_add_f16_e64 v104, v198, v112
	;; [unrolled: 1-line block ×3, first 2 shown]
	v_add_f16_e32 v91, v34, v37
	v_add_f16_e64 v37, v159, v97
	v_fma_f16 v94, v116, 0x388b, -v162
	v_add_f16_e32 v97, v92, v100
	v_fmamk_f16 v92, v116, 0xbbc4, v95
	v_mul_f16_e64 v161, 0xba95, v118
	v_fma_f16 v150, v107, 0xb9fd, -v150
	v_fma_f16 v200, 0xbbc4, v107, v156
	v_fma_f16 v156, v107, 0xbbc4, -v156
	v_fma_f16 v107, v115, 0xb9fd, -v157
	v_fmac_f16_e64 v157, 0xb9fd, v115
	v_fma_f16 v204, 0x2fb7, v116, v160
	v_add_f16_e64 v123, v179, v167
	v_add_f16_e64 v125, v135, v125
	;; [unrolled: 1-line block ×3, first 2 shown]
	v_add_f16_e32 v29, v101, v29
	v_add_f16_e32 v90, v99, v90
	v_add_f16_e64 v99, v185, v111
	v_add_f16_e64 v101, v141, v113
	;; [unrolled: 1-line block ×8, first 2 shown]
	v_mul_f16_e32 v34, 0x33a8, v118
	v_add_f16_e32 v100, v94, v102
	v_fma_f16 v95, v116, 0xbbc4, -v95
	v_add_f16_e32 v102, v92, v104
	v_mul_f16_e32 v92, 0x3770, v117
	v_fma_f16 v205, v115, 0x388b, -v161
	v_add_f16_e64 v128, v182, v170
	v_add_f16_e64 v119, v189, v123
	;; [unrolled: 1-line block ×4, first 2 shown]
	v_add_f16_e32 v29, v105, v29
	v_add_f16_e32 v90, v103, v90
	v_add_f16_e64 v99, v195, v99
	v_add_f16_e64 v101, v151, v101
	v_add_f16_e64 v103, v197, v111
	v_add_f16_e64 v105, v153, v113
	v_add_f16_e64 v112, v200, v120
	v_add_f16_e64 v44, v157, v93
	v_add_f16_e64 v93, v204, v96
	v_fmac_f16_e64 v161, 0x388b, v115
	v_fma_f16 v96, v115, 0xbbc4, -v34
	v_mul_f16_e32 v94, 0x3770, v118
	v_fmac_f16_e32 v34, 0xbbc4, v115
	v_add_f16_e32 v104, v95, v110
	v_fmamk_f16 v95, v116, 0x3b15, v92
	v_add_f16_e64 v124, v192, v128
	v_add_f16_e64 v111, v199, v119
	;; [unrolled: 1-line block ×4, first 2 shown]
	v_add_f16_e32 v29, v109, v29
	v_add_f16_e32 v43, v106, v43
	;; [unrolled: 1-line block ×4, first 2 shown]
	v_add_f16_e64 v40, v205, v99
	v_add_f16_e64 v99, v161, v101
	v_add_f16_e32 v101, v96, v103
	v_fma_f16 v96, v115, 0x3b15, -v94
	v_add_f16_e32 v103, v34, v105
	v_mul_f16_e32 v34, 0xbb7b, v118
	v_fmac_f16_e32 v94, 0x3b15, v115
	v_fma_f16 v92, v116, 0x3b15, -v92
	v_add_f16_e32 v106, v95, v112
	v_mul_f16_e32 v95, 0xbb7b, v117
	v_sub_f16_e32 v109, v31, v32
	v_sub_f16_e32 v110, v30, v33
	v_add_f16_e64 v38, v202, v124
	v_add_f16_e32 v105, v96, v111
	v_fma_f16 v96, v115, 0xb5ac, -v34
	v_add_f16_e32 v48, v94, v48
	v_add_f16_e32 v107, v92, v113
	v_fmamk_f16 v92, v116, 0xb5ac, v95
	v_fmac_f16_e32 v34, 0xb5ac, v115
	v_add_f16_e32 v30, v30, v33
	v_mul_f16_e32 v33, 0xb3a8, v109
	v_fma_f16 v94, v116, 0xb5ac, -v95
	v_add_f16_e32 v31, v31, v32
	v_mul_f16_e32 v32, 0xb3a8, v110
	v_add_f16_e64 v127, v181, v169
	v_add_f16_e32 v111, v92, v38
	v_fma_f16 v38, v30, 0xbbc4, -v33
	v_add_f16_e32 v29, v34, v29
	v_add_f16_e32 v112, v94, v43
	v_fmamk_f16 v34, v31, 0xbbc4, v32
	v_mul_f16_e32 v43, 0x3770, v109
	v_fma_f16 v32, v31, 0xbbc4, -v32
	v_fma_f16 v160, v116, 0x2fb7, -v160
	v_add_f16_e64 v123, v191, v127
	v_add_f16_e64 v98, v150, v98
	v_add_f16_e32 v35, v38, v35
	v_fmac_f16_e32 v33, 0xbbc4, v30
	v_add_f16_e32 v94, v34, v42
	v_fma_f16 v38, v30, 0x3b15, -v43
	v_mul_f16_e32 v42, 0x3770, v110
	v_add_f16_e32 v92, v32, v36
	v_mul_f16_e32 v32, 0xb94e, v109
	v_add_f16_e64 v114, v201, v123
	v_add_f16_e64 v39, v160, v98
	v_add_f16_e32 v34, v33, v44
	v_add_f16_e32 v36, v38, v41
	v_fmamk_f16 v33, v31, 0x3b15, v42
	v_fmac_f16_e32 v43, 0x3b15, v30
	v_fma_f16 v38, v31, 0x3b15, -v42
	v_fma_f16 v41, v30, 0xb9fd, -v32
	v_mul_f16_e32 v42, 0xb94e, v110
	v_add_f16_e32 v108, v96, v114
	v_add_f16_e32 v96, v33, v93
	v_add_f16_e32 v33, v43, v37
	v_add_f16_e32 v93, v38, v39
	v_add_f16_e32 v37, v41, v40
	v_fmamk_f16 v38, v31, 0xb9fd, v42
	v_fmac_f16_e32 v32, 0xb9fd, v30
	v_fma_f16 v41, v31, 0xb9fd, -v42
	v_mul_f16_e32 v42, 0x3a95, v110
	v_mul_f16_e32 v43, 0xbb7b, v109
	;; [unrolled: 1-line block ×3, first 2 shown]
	v_add_f16_e32 v40, v32, v99
	v_add_f16_e32 v95, v41, v100
	v_fmamk_f16 v32, v31, 0x388b, v42
	v_fma_f16 v41, v31, 0x388b, -v42
	v_mul_f16_e32 v42, 0xbb7b, v110
	v_add_f16_e32 v98, v38, v97
	v_fma_f16 v38, v30, 0x388b, -v39
	v_add_f16_e32 v99, v32, v102
	v_fma_f16 v32, v30, 0xb5ac, -v43
	v_fmac_f16_e32 v39, 0x388b, v30
	v_add_f16_e32 v97, v41, v104
	v_mul_f16_e32 v102, 0x3bf1, v109
	v_mul_f16_e32 v104, 0x3bf1, v110
	v_add_f16_e32 v41, v32, v105
	v_fmamk_f16 v32, v31, 0xb5ac, v42
	v_fmac_f16_e32 v43, 0xb5ac, v30
	v_add_f16_e32 v38, v38, v101
	v_add_f16_e32 v39, v39, v103
	v_fma_f16 v42, v31, 0xb5ac, -v42
	v_fma_f16 v103, v30, 0x2fb7, -v102
	v_add_f16_e32 v101, v32, v106
	v_fmamk_f16 v32, v31, 0x2fb7, v104
	v_fmac_f16_e32 v102, 0x2fb7, v30
	v_fma_f16 v30, v31, 0x2fb7, -v104
	v_add_f16_e32 v44, v43, v48
	v_lshl_add_u32 v48, v46, 2, v47
	v_pack_b32_f16 v31, v90, v91
	v_add_f16_e32 v100, v42, v107
	v_add_f16_e32 v42, v103, v108
	v_pack_b32_f16 v104, v35, v94
	v_pack_b32_f16 v105, v36, v96
	v_add_f16_e32 v103, v32, v111
	v_add_f16_e32 v43, v102, v29
	;; [unrolled: 1-line block ×3, first 2 shown]
	ds_store_b32 v48, v31
	ds_store_2addr_b32 v48, v104, v105 offset0:102 offset1:204
	v_pack_b32_f16 v104, v37, v98
	v_pack_b32_f16 v105, v38, v99
	v_add_nc_u32_e32 v29, 0x400, v48
	v_add_nc_u32_e32 v30, 0xa00, v48
	;; [unrolled: 1-line block ×4, first 2 shown]
	v_pack_b32_f16 v106, v41, v101
	v_pack_b32_f16 v107, v42, v103
	v_add_nc_u32_e32 v108, 0x600, v48
	v_pack_b32_f16 v109, v43, v102
	v_pack_b32_f16 v110, v44, v100
	;; [unrolled: 1-line block ×6, first 2 shown]
	ds_store_2addr_b32 v29, v104, v105 offset0:50 offset1:152
	ds_store_2addr_b32 v108, v106, v107 offset0:126 offset1:228
	;; [unrolled: 1-line block ×5, first 2 shown]
	global_wb scope:SCOPE_SE
	s_wait_dscnt 0x0
	s_barrier_signal -1
	s_barrier_wait -1
	global_inv scope:SCOPE_SE
	s_and_saveexec_b32 s1, vcc_lo
	s_cbranch_execz .LBB0_13
; %bb.12:
	global_load_b32 v104, v45, s[8:9] offset:5304
	s_add_nc_u64 s[2:3], s[8:9], 0x14b8
	s_clause 0xf
	global_load_b32 v120, v45, s[2:3] offset:312
	global_load_b32 v121, v45, s[2:3] offset:624
	;; [unrolled: 1-line block ×16, first 2 shown]
	ds_load_b32 v105, v48
	v_add_nc_u32_e32 v136, 0x200, v48
	v_add_nc_u32_e32 v137, 0x800, v48
	v_add_nc_u32_e32 v138, 0xe00, v48
	s_wait_dscnt 0x0
	v_lshrrev_b32_e32 v106, 16, v105
	s_wait_loadcnt 0xf
	v_lshrrev_b32_e32 v139, 16, v120
	s_wait_loadcnt 0xe
	;; [unrolled: 2-line block ×12, first 2 shown]
	v_lshrrev_b32_e32 v150, 16, v131
	v_lshrrev_b32_e32 v107, 16, v104
	s_wait_loadcnt 0x3
	v_lshrrev_b32_e32 v151, 16, v132
	s_wait_loadcnt 0x2
	;; [unrolled: 2-line block ×4, first 2 shown]
	v_lshrrev_b32_e32 v154, 16, v135
	v_mul_f16_e32 v108, v106, v107
	v_mul_f16_e32 v107, v105, v107
	s_delay_alu instid0(VALU_DEP_2) | instskip(NEXT) | instid1(VALU_DEP_2)
	v_fma_f16 v105, v105, v104, -v108
	v_fmac_f16_e32 v107, v106, v104
	s_delay_alu instid0(VALU_DEP_1)
	v_pack_b32_f16 v104, v105, v107
	ds_store_b32 v48, v104
	ds_load_2addr_b32 v[104:105], v48 offset0:78 offset1:156
	ds_load_2addr_b32 v[106:107], v136 offset0:106 offset1:184
	;; [unrolled: 1-line block ×8, first 2 shown]
	s_wait_dscnt 0x7
	v_lshrrev_b32_e32 v155, 16, v104
	v_lshrrev_b32_e32 v157, 16, v105
	s_wait_dscnt 0x6
	v_lshrrev_b32_e32 v159, 16, v106
	v_lshrrev_b32_e32 v161, 16, v107
	;; [unrolled: 3-line block ×5, first 2 shown]
	v_mul_f16_e64 v156, v104, v139
	v_mul_f16_e64 v158, v105, v140
	s_wait_dscnt 0x2
	v_lshrrev_b32_e32 v175, 16, v114
	v_lshrrev_b32_e32 v177, 16, v115
	s_wait_dscnt 0x1
	v_lshrrev_b32_e32 v179, 16, v116
	v_lshrrev_b32_e32 v181, 16, v117
	;; [unrolled: 3-line block ×3, first 2 shown]
	v_mul_f16_e64 v139, v155, v139
	v_mul_f16_e64 v140, v157, v140
	;; [unrolled: 1-line block ×24, first 2 shown]
	v_fmac_f16_e64 v156, v155, v120
	v_fmac_f16_e64 v158, v157, v121
	v_mul_f16_e64 v149, v175, v149
	v_mul_f16_e64 v150, v177, v150
	;; [unrolled: 1-line block ×6, first 2 shown]
	v_fma_f16 v104, v104, v120, -v139
	v_fma_f16 v105, v105, v121, -v140
	v_fmac_f16_e64 v160, v159, v122
	v_fmac_f16_e64 v162, v161, v123
	v_fma_f16 v106, v106, v122, -v141
	v_fma_f16 v107, v107, v123, -v142
	v_fmac_f16_e64 v164, v163, v124
	v_fmac_f16_e64 v166, v165, v125
	;; [unrolled: 4-line block ×5, first 2 shown]
	v_fmac_f16_e64 v180, v179, v132
	v_fmac_f16_e64 v182, v181, v133
	;; [unrolled: 1-line block ×4, first 2 shown]
	v_fma_f16 v114, v114, v130, -v149
	v_fma_f16 v115, v115, v131, -v150
	;; [unrolled: 1-line block ×6, first 2 shown]
	v_pack_b32_f16 v104, v104, v156
	v_pack_b32_f16 v105, v105, v158
	;; [unrolled: 1-line block ×16, first 2 shown]
	ds_store_2addr_b32 v48, v104, v105 offset0:78 offset1:156
	ds_store_2addr_b32 v136, v106, v107 offset0:106 offset1:184
	;; [unrolled: 1-line block ×8, first 2 shown]
.LBB0_13:
	s_wait_alu 0xfffe
	s_or_b32 exec_lo, exec_lo, s1
	global_wb scope:SCOPE_SE
	s_wait_dscnt 0x0
	s_barrier_signal -1
	s_barrier_wait -1
	global_inv scope:SCOPE_SE
	s_and_saveexec_b32 s1, vcc_lo
	s_cbranch_execz .LBB0_15
; %bb.14:
	v_add_nc_u32_e32 v25, 0x200, v48
	v_add_nc_u32_e32 v26, 0x400, v48
	v_add_nc_u32_e32 v27, 0x800, v48
	ds_load_b32 v90, v48
	ds_load_2addr_b32 v[35:36], v48 offset0:78 offset1:156
	ds_load_2addr_b32 v[37:38], v25 offset0:106 offset1:184
	v_add_nc_u32_e32 v25, 0xa00, v48
	ds_load_2addr_b32 v[41:42], v26 offset0:134 offset1:212
	v_add_nc_u32_e32 v26, 0xc00, v48
	ds_load_2addr_b32 v[43:44], v27 offset0:34 offset1:112
	v_add_nc_u32_e32 v27, 0xe00, v48
	ds_load_2addr_b32 v[39:40], v25 offset0:62 offset1:140
	v_add_nc_u32_e32 v25, 0x1000, v48
	ds_load_2addr_b32 v[33:34], v26 offset0:90 offset1:168
	ds_load_2addr_b32 v[27:28], v27 offset0:118 offset1:196
	;; [unrolled: 1-line block ×3, first 2 shown]
	s_wait_dscnt 0x8
	v_lshrrev_b32_e32 v91, 16, v90
	s_wait_dscnt 0x7
	v_lshrrev_b32_e32 v94, 16, v35
	v_lshrrev_b32_e32 v96, 16, v36
	s_wait_dscnt 0x6
	v_lshrrev_b32_e32 v98, 16, v37
	;; [unrolled: 3-line block ×8, first 2 shown]
	v_lshrrev_b32_e32 v87, 16, v26
.LBB0_15:
	s_wait_alu 0xfffe
	s_or_b32 exec_lo, exec_lo, s1
	s_delay_alu instid0(VALU_DEP_1)
	v_sub_f16_e64 v153, v94, v87
	v_add_f16_e64 v160, v87, v94
	v_add_f16_e32 v110, v26, v35
	v_sub_f16_e64 v165, v96, v86
	v_sub_f16_e32 v111, v35, v26
	v_mul_f16_e64 v120, 0xb5c8, v153
	v_mul_f16_e64 v126, 0xb964, v153
	;; [unrolled: 1-line block ×5, first 2 shown]
	v_fma_f16 v29, v110, 0x3b76, -v120
	v_fma_f16 v31, v110, 0x39e9, -v126
	v_add_f16_e64 v172, v86, v96
	v_add_f16_e32 v112, v25, v36
	v_mul_f16_e64 v124, 0xb964, v165
	v_mul_f16_e64 v133, 0xbbf7, v165
	v_fmamk_f16 v30, v111, 0xb5c8, v121
	v_mul_f16_e64 v132, 0xbb29, v153
	v_add_f16_e32 v29, v90, v29
	v_add_f16_e32 v31, v90, v31
	v_fmamk_f16 v32, v111, 0xb964, v127
	v_fma_f16 v105, 0xbb29, v111, v139
	v_mul_f16_e64 v152, 0xbbb2, v153
	v_sub_f16_e32 v113, v36, v25
	v_mul_f16_e64 v125, 0x39e9, v172
	v_fma_f16 v114, v112, 0x39e9, -v124
	v_fma_f16 v116, v112, 0x2de8, -v133
	v_mul_f16_e64 v135, 0x2de8, v172
	v_mul_f16_e64 v147, 0xb8d2, v172
	v_add_f16_e32 v30, v91, v30
	v_mul_f16_e64 v142, 0xbbf7, v153
	v_mul_f16_e64 v144, 0x2de8, v160
	v_fma_f16 v104, v110, 0x3722, -v132
	v_add_f16_e32 v32, v91, v32
	v_add_f16_e32 v105, v91, v105
	v_fma_f16 v108, v110, 0xb461, -v152
	v_fmamk_f16 v115, v113, 0xb964, v125
	v_add_f16_e32 v29, v114, v29
	v_add_f16_e32 v31, v116, v31
	v_mul_f16_e64 v140, 0xba62, v165
	v_fma_f16 v114, 0xbbf7, v113, v135
	v_fma_f16 v116, 0xba62, v113, v147
	v_mul_f16_e64 v164, 0x3836, v165
	v_sub_f16_e64 v176, v98, v88
	v_fma_f16 v106, v110, 0x2de8, -v142
	v_fma_f16 v107, 0xbbf7, v111, v144
	v_add_f16_e32 v104, v90, v104
	v_mul_f16_e64 v163, 0xb461, v160
	v_add_f16_e32 v108, v90, v108
	v_add_f16_e32 v30, v115, v30
	v_mul_f16_e64 v150, 0xb1e1, v165
	v_mul_f16_e64 v154, 0xbbdd, v172
	v_fma_f16 v115, v112, 0xb8d2, -v140
	v_add_f16_e32 v32, v114, v32
	v_add_f16_e32 v105, v116, v105
	v_add_f16_e64 v183, v88, v98
	v_add_f16_e32 v114, v28, v37
	v_fma_f16 v116, v112, 0xbacd, -v164
	v_mul_f16_e64 v141, 0xba62, v176
	v_add_f16_e32 v106, v90, v106
	v_add_f16_e32 v107, v91, v107
	v_fma_f16 v109, 0xbbb2, v111, v163
	v_fma_f16 v117, v112, 0xbbdd, -v150
	v_fma_f16 v118, 0xb1e1, v113, v154
	v_add_f16_e32 v104, v115, v104
	v_mul_f16_e64 v175, 0xbacd, v172
	v_sub_f16_e32 v115, v37, v28
	v_mul_f16_e64 v129, 0xbb29, v176
	v_add_f16_e32 v108, v116, v108
	v_fma_f16 v116, v114, 0xb8d2, -v141
	v_mul_f16_e64 v143, 0xb8d2, v183
	v_add_f16_e32 v109, v91, v109
	v_add_f16_e32 v106, v117, v106
	;; [unrolled: 1-line block ×3, first 2 shown]
	v_mul_f16_e64 v131, 0x3722, v183
	v_fma_f16 v117, 0x3836, v113, v175
	v_fma_f16 v118, v114, 0x3722, -v129
	v_add_f16_e32 v31, v116, v31
	v_mul_f16_e64 v148, 0x31e1, v176
	v_mul_f16_e64 v157, 0xbbdd, v183
	;; [unrolled: 1-line block ×3, first 2 shown]
	v_fma_f16 v116, 0xba62, v115, v143
	v_sub_f16_e64 v188, v99, v89
	v_fma_f16 v119, 0xbb29, v115, v131
	v_add_f16_e32 v109, v117, v109
	v_add_f16_e32 v29, v118, v29
	v_mul_f16_e64 v161, 0x3bb2, v176
	v_fma_f16 v117, v114, 0xbbdd, -v148
	v_fma_f16 v118, 0x31e1, v115, v157
	v_fma_f16 v122, 0x3bb2, v115, v166
	v_add_f16_e32 v32, v116, v32
	v_mul_f16_e64 v177, 0x3964, v176
	v_add_f16_e64 v193, v89, v99
	v_add_f16_e32 v116, v27, v38
	v_mul_f16_e64 v136, 0xbbf7, v188
	v_add_f16_e32 v30, v119, v30
	v_fma_f16 v119, v114, 0xb461, -v161
	v_add_f16_e32 v104, v117, v104
	v_add_f16_e32 v105, v118, v105
	;; [unrolled: 1-line block ×3, first 2 shown]
	v_mul_f16_e64 v187, 0x39e9, v183
	v_sub_f16_e32 v117, v38, v27
	v_fma_f16 v118, v114, 0x39e9, -v177
	v_mul_f16_e64 v149, 0xb1e1, v188
	v_fma_f16 v122, v116, 0x2de8, -v136
	v_mul_f16_e64 v169, 0xb461, v193
	v_add_f16_e32 v106, v119, v106
	v_fma_f16 v119, 0x3964, v115, v187
	v_add_f16_e32 v108, v118, v108
	v_fma_f16 v118, v116, 0xbbdd, -v149
	v_add_f16_e32 v29, v122, v29
	v_mul_f16_e64 v151, 0xbbdd, v193
	v_mul_f16_e64 v158, 0x3bb2, v188
	v_fma_f16 v122, 0x3bb2, v117, v169
	v_mul_f16_e64 v189, 0xbb29, v188
	v_add_f16_e32 v109, v119, v109
	v_add_f16_e32 v31, v118, v31
	v_fma_f16 v118, 0xb1e1, v117, v151
	v_mul_f16_e64 v178, 0x3b76, v193
	v_fma_f16 v119, v116, 0xb461, -v158
	v_add_f16_e32 v105, v122, v105
	v_mul_f16_e64 v196, 0x3722, v193
	v_add_f16_e64 v204, v92, v101
	v_fma_f16 v122, v116, 0x3722, -v189
	v_mul_f16_e64 v137, 0x2de8, v193
	v_add_f16_e32 v32, v118, v32
	v_fma_f16 v118, 0x35c8, v117, v178
	v_add_f16_e32 v104, v119, v104
	v_sub_f16_e64 v199, v101, v92
	v_sub_f16_e32 v119, v41, v34
	v_add_f16_e32 v108, v122, v108
	v_fma_f16 v122, 0xbb29, v117, v196
	v_mul_f16_e64 v162, 0xbacd, v204
	v_fma_f16 v123, 0xbbf7, v117, v137
	v_mul_f16_e64 v173, 0x35c8, v188
	v_add_f16_e32 v107, v118, v107
	v_add_f16_e32 v118, v34, v41
	v_mul_f16_e64 v146, 0xb461, v204
	v_add_f16_e32 v109, v122, v109
	v_fma_f16 v122, 0x3836, v119, v162
	v_mul_f16_e64 v170, 0x3964, v199
	v_add_f16_e32 v30, v123, v30
	v_fma_f16 v123, v116, 0x3b76, -v173
	v_mul_f16_e64 v145, 0xbbb2, v199
	v_mul_f16_e64 v159, 0x3836, v199
	v_fma_f16 v128, 0xbbb2, v119, v146
	v_mul_f16_e64 v184, 0xbb29, v199
	v_add_f16_e32 v32, v122, v32
	v_fma_f16 v122, v118, 0x39e9, -v170
	v_mul_f16_e64 v198, 0xb1e1, v199
	v_add_f16_e32 v106, v123, v106
	v_fma_f16 v123, v118, 0xb461, -v145
	v_fma_f16 v130, v118, 0xbacd, -v159
	v_add_f16_e64 v30, v128, v30
	v_mul_f16_e64 v180, 0x39e9, v204
	v_mul_f16_e64 v190, 0x3722, v204
	v_fma_f16 v128, v118, 0x3722, -v184
	v_add_f16_e32 v104, v122, v104
	v_fma_f16 v122, v118, 0xbbdd, -v198
	v_sub_f16_e64 v207, v103, v93
	v_mul_f16_e64 v205, 0xbbdd, v204
	v_add_f16_e32 v29, v123, v29
	v_add_f16_e64 v31, v130, v31
	v_fma_f16 v123, 0x3964, v119, v180
	v_fma_f16 v130, 0xbb29, v119, v190
	v_add_f16_e64 v106, v128, v106
	v_add_f16_e64 v211, v93, v103
	v_add_f16_e32 v108, v122, v108
	v_add_f16_e32 v122, v33, v42
	v_mul_f16_e64 v155, 0xba62, v207
	v_fma_f16 v128, 0xb1e1, v119, v205
	v_mul_f16_e64 v171, 0x3bb2, v207
	v_add_f16_e32 v105, v123, v105
	v_add_f16_e64 v107, v130, v107
	v_sub_f16_e32 v123, v42, v33
	v_mul_f16_e64 v156, 0xb8d2, v211
	v_fma_f16 v130, v122, 0xb8d2, -v155
	v_mul_f16_e64 v174, 0xb461, v211
	v_add_f16_e64 v109, v128, v109
	v_fma_f16 v128, v122, 0xb461, -v171
	v_mul_f16_e64 v182, 0xb5c8, v207
	v_fma_f16 v134, 0xba62, v123, v156
	v_add_f16_e64 v29, v130, v29
	v_fma_f16 v130, 0x3bb2, v123, v174
	v_add_f16_e64 v31, v128, v31
	v_mul_f16_e64 v191, 0x3b76, v211
	v_mul_f16_e64 v194, 0xb836, v207
	v_fma_f16 v128, v122, 0x3b76, -v182
	v_mul_f16_e64 v200, 0xbacd, v211
	v_add_f16_e64 v30, v134, v30
	v_add_f16_e64 v32, v130, v32
	v_fma_f16 v130, 0xb5c8, v123, v191
	v_mul_f16_e64 v206, 0x3bf7, v207
	v_fma_f16 v134, v122, 0xbacd, -v194
	v_add_f16_e64 v104, v128, v104
	v_fma_f16 v128, 0xb836, v123, v200
	v_mul_f16_e64 v212, 0x2de8, v211
	v_sub_f16_e64 v213, v102, v95
	v_add_f16_e64 v105, v130, v105
	v_fma_f16 v130, v122, 0x2de8, -v206
	v_add_f16_e64 v106, v134, v106
	v_add_f16_e64 v107, v128, v107
	;; [unrolled: 1-line block ×3, first 2 shown]
	v_fma_f16 v134, 0x3bf7, v123, v212
	v_add_f16_e64 v128, v40, v43
	v_mul_f16_e64 v167, 0xb836, v213
	v_add_f16_e64 v108, v130, v108
	v_sub_f16_e64 v130, v43, v40
	v_mul_f16_e64 v168, 0xbacd, v217
	v_add_f16_e64 v109, v134, v109
	v_fma_f16 v134, v128, 0xbacd, -v167
	v_mul_f16_e64 v186, 0x3722, v217
	v_mul_f16_e64 v192, 0xbbf7, v213
	v_fma_f16 v138, 0xb836, v130, v168
	v_mul_f16_e64 v203, 0x3a62, v213
	v_add_f16_e64 v29, v134, v29
	v_fma_f16 v134, 0x3b29, v130, v186
	v_mul_f16_e64 v208, 0xb8d2, v217
	v_mul_f16_e64 v185, 0x3b29, v213
	v_add_f16_e64 v209, v138, v30
	v_fma_f16 v30, v128, 0x2de8, -v192
	v_mul_f16_e64 v202, 0x2de8, v217
	v_add_f16_e64 v32, v134, v32
	v_fma_f16 v134, v128, 0xb8d2, -v203
	v_mul_f16_e64 v216, 0x3b76, v217
	v_fma_f16 v138, 0x3a62, v130, v208
	v_add_f16_e64 v220, v97, v100
	v_fma_f16 v179, v128, 0x3722, -v185
	v_add_f16_e32 v104, v30, v104
	v_fma_f16 v30, 0xbbf7, v130, v202
	v_mul_f16_e64 v214, 0xb5c8, v213
	v_add_f16_e64 v222, v134, v106
	v_fma_f16 v106, 0xb5c8, v130, v216
	v_add_f16_e64 v223, v138, v107
	v_sub_f16_e64 v218, v100, v97
	v_sub_f16_e64 v138, v44, v39
	v_mul_f16_e64 v181, 0xbbdd, v220
	v_add_f16_e64 v31, v179, v31
	v_add_f16_e32 v105, v30, v105
	v_fma_f16 v30, v128, 0x3b76, -v214
	v_add_f16_e64 v225, v106, v109
	v_add_f16_e64 v134, v39, v44
	v_mul_f16_e64 v179, 0xb1e1, v218
	v_mul_f16_e64 v195, 0x35c8, v218
	v_mul_f16_e64 v197, 0x3b76, v220
	v_mul_f16_e64 v201, 0xb836, v218
	v_fma_f16 v106, 0xb1e1, v138, v181
	v_add_f16_e64 v224, v30, v108
	v_fma_f16 v30, v134, 0xbbdd, -v179
	v_fma_f16 v107, v134, 0x3b76, -v195
	v_fma_f16 v108, 0x35c8, v138, v197
	v_fma_f16 v109, v134, 0xbacd, -v201
	v_add_f16_e64 v106, v106, v209
	v_mul_f16_e64 v209, 0xbacd, v220
	v_mul_f16_e64 v210, 0x3964, v218
	;; [unrolled: 1-line block ×5, first 2 shown]
	v_add_f16_e32 v30, v30, v29
	v_add_f16_e32 v29, v107, v31
	;; [unrolled: 1-line block ×4, first 2 shown]
	v_fma_f16 v31, 0xb836, v138, v209
	v_fma_f16 v104, v134, 0x39e9, -v210
	v_fma_f16 v109, 0x3964, v138, v215
	v_fma_f16 v226, v134, 0xb8d2, -v219
	v_fma_f16 v227, 0xba62, v138, v221
	v_add_f16_e32 v108, v31, v105
	v_add_f16_e64 v31, v104, v222
	v_add_f16_e64 v109, v109, v223
	;; [unrolled: 1-line block ×4, first 2 shown]
	global_wb scope:SCOPE_SE
	s_barrier_signal -1
	s_barrier_wait -1
	global_inv scope:SCOPE_SE
	s_and_saveexec_b32 s1, vcc_lo
	s_cbranch_execz .LBB0_17
; %bb.16:
	v_add_f16_e32 v35, v35, v90
	v_mul_f16_e64 v233, 0x3b29, v165
	v_add_f16_e32 v94, v94, v91
	s_delay_alu instid0(VALU_DEP_3) | instskip(SKIP_1) | instid1(VALU_DEP_4)
	v_add_f16_e32 v35, v36, v35
	v_mul_f16_e64 v36, 0x35c8, v165
	v_fma_f16 v234, 0x3722, v112, v233
	v_mul_f16_e64 v165, 0x3bb2, v165
	v_add_f16_e32 v94, v96, v94
	v_add_f16_e32 v35, v37, v35
	v_mul_f16_e64 v37, 0xbacd, v160
	v_mul_f16_e64 v96, 0x35c8, v138
	v_fma_f16 v245, 0xb461, v112, v165
	v_add_f16_e32 v94, v98, v94
	v_add_f16_e32 v35, v38, v35
	v_mul_f16_e64 v38, 0x3722, v172
	v_mul_f16_e32 v98, 0xb5c8, v111
	v_sub_f16_e64 v96, v197, v96
	v_add_f16_e32 v94, v99, v94
	v_add_f16_e32 v35, v41, v35
	v_mul_f16_e32 v99, 0x3b76, v110
	v_sub_f16_e32 v98, v121, v98
	s_delay_alu instid0(VALU_DEP_4) | instskip(NEXT) | instid1(VALU_DEP_4)
	v_add_f16_e32 v94, v101, v94
	v_add_f16_e32 v35, v42, v35
	s_delay_alu instid0(VALU_DEP_4)
	v_add_f16_e32 v99, v99, v120
	v_mul_f16_e32 v101, 0x39e9, v112
	v_mul_f16_e32 v120, 0xb964, v113
	v_add_f16_e32 v94, v103, v94
	v_add_f16_e32 v35, v43, v35
	;; [unrolled: 1-line block ×4, first 2 shown]
	v_sub_f16_e32 v120, v125, v120
	v_add_f16_e32 v94, v102, v94
	v_add_f16_e32 v35, v44, v35
	;; [unrolled: 1-line block ×4, first 2 shown]
	v_mul_f16_e32 v101, 0x3722, v114
	v_mul_f16_e32 v103, 0xbb29, v115
	v_add_f16_e32 v35, v39, v35
	v_fmamk_f16 v39, v113, 0xbb29, v38
	v_add_f16_e32 v94, v100, v94
	v_add_f16_e64 v101, v101, v129
	v_mul_f16_e32 v100, 0x2de8, v116
	v_add_f16_e32 v35, v40, v35
	v_fmac_f16_e32 v38, 0x3b29, v113
	v_add_f16_e32 v98, v120, v98
	v_sub_f16_e64 v103, v131, v103
	v_mul_f16_e32 v102, 0xbbf7, v117
	v_add_f16_e32 v33, v33, v35
	v_mul_f16_e64 v35, 0xb1e1, v153
	v_add_f16_e32 v99, v101, v99
	v_add_f16_e64 v100, v100, v136
	v_add_f16_e32 v94, v97, v94
	v_add_f16_e32 v33, v34, v33
	v_mul_f16_e64 v34, 0x3b76, v172
	v_mul_f16_e64 v172, 0xb461, v172
	v_add_f16_e32 v98, v103, v98
	v_sub_f16_e64 v102, v137, v102
	v_add_f16_e32 v27, v27, v33
	v_mul_f16_e64 v33, 0xbbdd, v160
	v_mul_f16_e64 v160, 0xb8d2, v160
	v_fma_f16 v242, 0xbbb2, v113, v172
	v_mul_f16_e32 v101, 0xbbb2, v119
	v_add_f16_e32 v27, v28, v27
	v_fmamk_f16 v28, v112, 0x3b76, v36
	v_add_f16_e32 v97, v100, v99
	v_mul_f16_e32 v99, 0xb461, v118
	v_add_f16_e32 v94, v95, v94
	v_add_f16_e32 v25, v25, v27
	v_fmamk_f16 v27, v113, 0xb5c8, v34
	v_fmac_f16_e32 v34, 0x35c8, v113
	v_fmac_f16_e64 v172, 0x3bb2, v113
	v_add_f16_e32 v98, v102, v98
	v_add_f16_e32 v25, v26, v25
	v_fmamk_f16 v26, v111, 0x31e1, v33
	v_fmac_f16_e32 v33, 0xb1e1, v111
	v_sub_f16_e64 v101, v146, v101
	v_add_f16_e64 v99, v99, v145
	v_mul_f16_e32 v95, 0xba62, v123
	v_add_f16_e32 v26, v91, v26
	v_add_f16_e32 v33, v91, v33
	;; [unrolled: 1-line block ×4, first 2 shown]
	v_sub_f16_e64 v95, v156, v95
	v_add_f16_e32 v26, v27, v26
	v_fmamk_f16 v27, v110, 0xbbdd, v35
	v_add_f16_e32 v33, v34, v33
	v_fma_f16 v34, v110, 0xbbdd, -v35
	v_fma_f16 v35, v112, 0x3b76, -v36
	v_add_f16_e32 v97, v99, v97
	v_add_f16_e32 v27, v90, v27
	v_mul_f16_e32 v99, 0xb8d2, v122
	v_add_f16_e32 v34, v90, v34
	v_add_f16_e32 v92, v92, v93
	;; [unrolled: 1-line block ×4, first 2 shown]
	v_fmamk_f16 v28, v111, 0x3836, v37
	v_add_f16_e32 v34, v35, v34
	v_fmac_f16_e32 v37, 0xb836, v111
	v_add_f16_e64 v99, v99, v155
	v_mul_f16_e64 v95, 0xb836, v130
	v_add_f16_e32 v28, v91, v28
	v_mul_f16_e64 v93, 0xbacd, v128
	v_add_f16_e32 v89, v89, v92
	v_add_f16_e32 v97, v99, v97
	v_sub_f16_e64 v95, v168, v95
	v_add_f16_e32 v28, v39, v28
	v_mul_f16_e64 v39, 0xbacd, v183
	v_add_f16_e64 v93, v93, v167
	v_mul_f16_e64 v92, 0xb1e1, v138
	v_add_f16_e32 v88, v88, v89
	v_mul_f16_e64 v89, 0xbbdd, v134
	v_fmamk_f16 v40, v115, 0x3836, v39
	v_fmac_f16_e32 v39, 0xb836, v115
	v_add_f16_e32 v94, v95, v94
	v_sub_f16_e64 v92, v181, v92
	v_add_f16_e32 v93, v93, v97
	v_add_f16_e32 v26, v40, v26
	v_mul_f16_e64 v40, 0xb836, v176
	v_add_f16_e32 v33, v39, v33
	v_fma_f16 v39, v112, 0x3722, -v233
	v_add_f16_e64 v89, v89, v179
	v_add_f16_e32 v86, v86, v88
	v_fmamk_f16 v41, v114, 0xbacd, v40
	v_fma_f16 v35, v114, 0xbacd, -v40
	v_add_f16_e32 v92, v92, v94
	v_add_f16_e32 v89, v89, v93
	;; [unrolled: 1-line block ×4, first 2 shown]
	v_mul_f16_e64 v41, 0x2de8, v183
	v_mul_f16_e64 v183, 0x3b76, v183
	v_add_f16_e32 v34, v35, v34
	v_add_f16_e32 v35, v91, v37
	v_pack_b32_f16 v25, v25, v86
	v_fmamk_f16 v42, v115, 0x3bf7, v41
	v_fmac_f16_e32 v41, 0xbbf7, v115
	s_delay_alu instid0(VALU_DEP_4) | instskip(NEXT) | instid1(VALU_DEP_3)
	v_add_f16_e32 v35, v38, v35
	v_add_f16_e32 v28, v42, v28
	v_mul_f16_e64 v42, 0x39e9, v193
	s_delay_alu instid0(VALU_DEP_3) | instskip(SKIP_1) | instid1(VALU_DEP_3)
	v_add_f16_e32 v35, v41, v35
	v_and_b32_e32 v41, 0xffff, v49
	v_fmamk_f16 v43, v117, 0xb964, v42
	v_fmac_f16_e32 v42, 0x3964, v117
	s_delay_alu instid0(VALU_DEP_2) | instskip(SKIP_1) | instid1(VALU_DEP_3)
	v_add_f16_e32 v26, v43, v26
	v_mul_f16_e64 v43, 0x3964, v188
	v_add_f16_e32 v33, v42, v33
	s_delay_alu instid0(VALU_DEP_2) | instskip(SKIP_1) | instid1(VALU_DEP_2)
	v_fmamk_f16 v44, v116, 0x39e9, v43
	v_fma_f16 v36, v116, 0x39e9, -v43
	v_add_f16_e32 v27, v44, v27
	v_mul_f16_e64 v44, 0xb8d2, v193
	v_mul_f16_e64 v193, 0xbacd, v193
	s_delay_alu instid0(VALU_DEP_4) | instskip(NEXT) | instid1(VALU_DEP_3)
	v_add_f16_e32 v34, v36, v34
	v_fma_f16 v222, 0xba62, v117, v44
	v_fmac_f16_e32 v44, 0x3a62, v117
	s_delay_alu instid0(VALU_DEP_2) | instskip(SKIP_1) | instid1(VALU_DEP_3)
	v_add_f16_e64 v28, v222, v28
	v_mul_f16_e64 v222, 0xb8d2, v204
	v_add_f16_e32 v35, v44, v35
	s_delay_alu instid0(VALU_DEP_2) | instskip(SKIP_1) | instid1(VALU_DEP_2)
	v_fma_f16 v223, 0x3a62, v119, v222
	v_fmac_f16_e64 v222, 0xba62, v119
	v_add_f16_e64 v26, v223, v26
	v_mul_f16_e64 v223, 0xba62, v199
	s_delay_alu instid0(VALU_DEP_3) | instskip(NEXT) | instid1(VALU_DEP_2)
	v_add_f16_e64 v33, v222, v33
	v_fma_f16 v224, 0xb8d2, v118, v223
	v_fma_f16 v36, v118, 0xb8d2, -v223
	s_delay_alu instid0(VALU_DEP_2) | instskip(SKIP_1) | instid1(VALU_DEP_3)
	v_add_f16_e64 v27, v224, v27
	v_mul_f16_e64 v224, 0x3722, v211
	v_add_f16_e32 v34, v36, v34
	s_delay_alu instid0(VALU_DEP_2) | instskip(SKIP_1) | instid1(VALU_DEP_2)
	v_fma_f16 v225, 0xbb29, v123, v224
	v_fmac_f16_e64 v224, 0x3b29, v123
	v_add_f16_e64 v26, v225, v26
	v_mul_f16_e64 v225, 0x3b29, v207
	s_delay_alu instid0(VALU_DEP_3) | instskip(NEXT) | instid1(VALU_DEP_2)
	v_add_f16_e64 v33, v224, v33
	v_fma_f16 v226, 0x3722, v122, v225
	v_fma_f16 v36, v122, 0x3722, -v225
	;; [unrolled: 13-line block ×4, first 2 shown]
	s_delay_alu instid0(VALU_DEP_2) | instskip(SKIP_2) | instid1(VALU_DEP_4)
	v_add_f16_e64 v27, v230, v27
	v_mul_f16_e64 v230, 0x3b76, v204
	v_mul_f16_e64 v204, 0x2de8, v204
	v_add_f16_e32 v34, v36, v34
	s_delay_alu instid0(VALU_DEP_4) | instskip(NEXT) | instid1(VALU_DEP_4)
	v_pack_b32_f16 v26, v27, v26
	v_fma_f16 v231, 0x35c8, v119, v230
	v_fmac_f16_e64 v230, 0xb5c8, v119
	s_delay_alu instid0(VALU_DEP_2) | instskip(SKIP_2) | instid1(VALU_DEP_4)
	v_add_f16_e64 v28, v231, v28
	v_mul_f16_e64 v231, 0xb836, v153
	v_mul_f16_e64 v153, 0xba62, v153
	v_add_f16_e64 v35, v230, v35
	s_delay_alu instid0(VALU_DEP_3) | instskip(SKIP_1) | instid1(VALU_DEP_4)
	v_fma_f16 v232, 0xbacd, v110, v231
	v_fma_f16 v37, v110, 0xbacd, -v231
	v_fma_f16 v38, v110, 0xb8d2, -v153
	s_delay_alu instid0(VALU_DEP_3) | instskip(NEXT) | instid1(VALU_DEP_3)
	v_add_f16_e64 v232, v90, v232
	v_add_f16_e32 v37, v90, v37
	s_delay_alu instid0(VALU_DEP_3) | instskip(NEXT) | instid1(VALU_DEP_3)
	v_add_f16_e32 v38, v90, v38
	v_add_f16_e64 v232, v234, v232
	v_mul_f16_e64 v234, 0xbbdd, v211
	v_mul_f16_e64 v211, 0x39e9, v211
	v_add_f16_e32 v37, v39, v37
	v_fma_f16 v39, v112, 0xb461, -v165
	s_delay_alu instid0(VALU_DEP_4) | instskip(SKIP_1) | instid1(VALU_DEP_3)
	v_fma_f16 v235, 0x31e1, v123, v234
	v_fmac_f16_e64 v234, 0xb1e1, v123
	v_add_f16_e32 v38, v39, v38
	s_delay_alu instid0(VALU_DEP_3) | instskip(SKIP_3) | instid1(VALU_DEP_3)
	v_add_f16_e64 v28, v235, v28
	v_mul_f16_e64 v235, 0xbbf7, v176
	v_mul_f16_e64 v176, 0xb5c8, v176
	v_add_f16_e64 v35, v234, v35
	v_fma_f16 v236, 0x2de8, v114, v235
	v_fma_f16 v40, v114, 0x2de8, -v235
	s_delay_alu instid0(VALU_DEP_4) | instskip(NEXT) | instid1(VALU_DEP_3)
	v_fma_f16 v39, v114, 0x3b76, -v176
	v_add_f16_e64 v232, v236, v232
	v_mul_f16_e64 v236, 0x39e9, v217
	v_mul_f16_e64 v217, 0xbbdd, v217
	v_add_f16_e32 v37, v40, v37
	v_add_f16_e32 v38, v39, v38
	s_delay_alu instid0(VALU_DEP_4) | instskip(SKIP_1) | instid1(VALU_DEP_2)
	v_fma_f16 v237, 0xb964, v130, v236
	v_fmac_f16_e64 v236, 0x3964, v130
	v_add_f16_e64 v28, v237, v28
	v_mul_f16_e64 v237, 0x3a62, v188
	v_mul_f16_e64 v188, 0xb836, v188
	s_delay_alu instid0(VALU_DEP_4) | instskip(NEXT) | instid1(VALU_DEP_3)
	v_add_f16_e64 v35, v236, v35
	v_fma_f16 v238, 0xb8d2, v116, v237
	v_fma_f16 v40, v116, 0xb8d2, -v237
	s_delay_alu instid0(VALU_DEP_4) | instskip(NEXT) | instid1(VALU_DEP_3)
	v_fma_f16 v39, v116, 0xbacd, -v188
	v_add_f16_e64 v232, v238, v232
	v_mul_f16_e64 v238, 0xb461, v220
	s_delay_alu instid0(VALU_DEP_4) | instskip(NEXT) | instid1(VALU_DEP_4)
	v_add_f16_e32 v37, v40, v37
	v_add_f16_e32 v38, v39, v38
	s_delay_alu instid0(VALU_DEP_3) | instskip(SKIP_1) | instid1(VALU_DEP_2)
	v_fma_f16 v239, 0x3bb2, v138, v238
	v_fmac_f16_e64 v238, 0xbbb2, v138
	v_add_f16_e64 v28, v239, v28
	v_mul_f16_e64 v239, 0xb5c8, v199
	v_mul_f16_e64 v199, 0x3bf7, v199
	s_delay_alu instid0(VALU_DEP_4) | instskip(NEXT) | instid1(VALU_DEP_3)
	v_add_f16_e64 v35, v238, v35
	v_fma_f16 v240, 0x3b76, v118, v239
	v_fma_f16 v40, v118, 0x3b76, -v239
	s_delay_alu instid0(VALU_DEP_4) | instskip(NEXT) | instid1(VALU_DEP_3)
	v_fma_f16 v39, v118, 0x2de8, -v199
	v_add_f16_e64 v232, v240, v232
	v_mul_f16_e64 v240, 0xb1e1, v207
	s_delay_alu instid0(VALU_DEP_4) | instskip(NEXT) | instid1(VALU_DEP_4)
	v_add_f16_e32 v37, v40, v37
	v_add_f16_e32 v38, v39, v38
	s_delay_alu instid0(VALU_DEP_3) | instskip(SKIP_1) | instid1(VALU_DEP_2)
	v_fma_f16 v241, 0xbbdd, v122, v240
	v_fma_f16 v40, v122, 0xbbdd, -v240
	v_add_f16_e64 v232, v241, v232
	v_fma_f16 v241, 0x3a62, v111, v160
	v_fmac_f16_e64 v160, 0xba62, v111
	s_delay_alu instid0(VALU_DEP_4) | instskip(NEXT) | instid1(VALU_DEP_3)
	v_add_f16_e32 v37, v40, v37
	v_add_f16_e64 v241, v91, v241
	s_delay_alu instid0(VALU_DEP_3) | instskip(NEXT) | instid1(VALU_DEP_2)
	v_add_f16_e64 v36, v91, v160
	v_add_f16_e64 v241, v242, v241
	v_mul_f16_e64 v242, 0x3964, v213
	s_delay_alu instid0(VALU_DEP_3) | instskip(SKIP_1) | instid1(VALU_DEP_3)
	v_add_f16_e64 v36, v172, v36
	v_mul_f16_e64 v213, 0xb1e1, v213
	v_fma_f16 v243, 0x39e9, v128, v242
	v_fma_f16 v40, v128, 0x39e9, -v242
	s_delay_alu instid0(VALU_DEP_2) | instskip(SKIP_2) | instid1(VALU_DEP_4)
	v_add_f16_e64 v232, v243, v232
	v_fma_f16 v243, 0x35c8, v115, v183
	v_fmac_f16_e64 v183, 0xb5c8, v115
	v_add_f16_e32 v37, v40, v37
	s_delay_alu instid0(VALU_DEP_3) | instskip(SKIP_1) | instid1(VALU_DEP_4)
	v_add_f16_e64 v241, v243, v241
	v_mul_f16_e64 v243, 0xbbb2, v218
	v_add_f16_e64 v36, v183, v36
	s_delay_alu instid0(VALU_DEP_2) | instskip(SKIP_1) | instid1(VALU_DEP_2)
	v_fma_f16 v244, 0xb461, v134, v243
	v_fma_f16 v40, v134, 0xb461, -v243
	v_add_f16_e64 v232, v244, v232
	v_fma_f16 v244, 0x3836, v117, v193
	v_fmac_f16_e64 v193, 0xb836, v117
	s_delay_alu instid0(VALU_DEP_4)
	v_add_f16_e32 v37, v40, v37
	v_lshl_add_u32 v40, v41, 2, v47
	v_pack_b32_f16 v41, v89, v92
	v_add_f16_e64 v241, v244, v241
	v_fma_f16 v244, 0xbbf7, v119, v204
	v_add_f16_e64 v36, v193, v36
	v_fmac_f16_e64 v204, 0x3bf7, v119
	v_pack_b32_f16 v28, v232, v28
	s_delay_alu instid0(VALU_DEP_4) | instskip(SKIP_1) | instid1(VALU_DEP_4)
	v_add_f16_e64 v241, v244, v241
	v_fma_f16 v244, 0xb8d2, v110, v153
	v_add_f16_e64 v36, v204, v36
	s_delay_alu instid0(VALU_DEP_2) | instskip(NEXT) | instid1(VALU_DEP_1)
	v_add_f16_e64 v244, v90, v244
	v_add_f16_e64 v244, v245, v244
	v_fma_f16 v245, 0x3964, v123, v211
	v_fmac_f16_e64 v211, 0xb964, v123
	s_delay_alu instid0(VALU_DEP_2) | instskip(SKIP_1) | instid1(VALU_DEP_3)
	v_add_f16_e64 v241, v245, v241
	v_fma_f16 v245, 0x3b76, v114, v176
	v_add_f16_e64 v36, v211, v36
	s_delay_alu instid0(VALU_DEP_2) | instskip(SKIP_1) | instid1(VALU_DEP_1)
	v_add_f16_e64 v244, v245, v244
	v_mul_f16_e64 v245, 0xbbb2, v111
	v_sub_f16_e64 v163, v163, v245
	v_fma_f16 v245, 0x31e1, v130, v217
	v_fmac_f16_e64 v217, 0xb1e1, v130
	s_delay_alu instid0(VALU_DEP_3) | instskip(NEXT) | instid1(VALU_DEP_3)
	v_add_f16_e64 v163, v91, v163
	v_add_f16_e64 v241, v245, v241
	v_fma_f16 v245, 0xbacd, v116, v188
	s_delay_alu instid0(VALU_DEP_4) | instskip(NEXT) | instid1(VALU_DEP_2)
	v_add_f16_e64 v36, v217, v36
	v_add_f16_e64 v244, v245, v244
	v_mul_f16_e64 v245, 0x3836, v113
	s_delay_alu instid0(VALU_DEP_1) | instskip(SKIP_1) | instid1(VALU_DEP_2)
	v_sub_f16_e64 v175, v175, v245
	v_fma_f16 v245, 0x2de8, v118, v199
	v_add_f16_e64 v163, v175, v163
	v_mul_f16_e64 v175, 0x3964, v115
	s_delay_alu instid0(VALU_DEP_3) | instskip(NEXT) | instid1(VALU_DEP_2)
	v_add_f16_e64 v244, v245, v244
	v_sub_f16_e64 v175, v187, v175
	v_mul_f16_e64 v187, 0xb964, v207
	s_delay_alu instid0(VALU_DEP_2) | instskip(SKIP_1) | instid1(VALU_DEP_3)
	v_add_f16_e64 v163, v175, v163
	v_mul_f16_e64 v175, 0xbb29, v117
	v_fma_f16 v207, 0x39e9, v122, v187
	v_fma_f16 v39, v122, 0x39e9, -v187
	s_delay_alu instid0(VALU_DEP_3) | instskip(SKIP_1) | instid1(VALU_DEP_4)
	v_sub_f16_e64 v175, v196, v175
	v_mul_f16_e64 v196, 0x3722, v220
	v_add_f16_e64 v207, v207, v244
	s_delay_alu instid0(VALU_DEP_4)
	v_add_f16_e32 v38, v39, v38
	v_fma_f16 v39, v128, 0xbbdd, -v213
	v_add_f16_e64 v163, v175, v163
	v_mul_f16_e64 v175, 0xb461, v110
	v_fma_f16 v220, 0xbb29, v138, v196
	v_fmac_f16_e64 v196, 0x3b29, v138
	v_add_f16_e32 v38, v39, v38
	s_delay_alu instid0(VALU_DEP_4)
	v_add_f16_e64 v152, v175, v152
	v_mul_f16_e64 v175, 0xb1e1, v119
	v_add_f16_e64 v220, v220, v241
	v_fma_f16 v241, 0xbbdd, v128, v213
	v_add_f16_e64 v36, v196, v36
	v_add_f16_e64 v152, v90, v152
	v_sub_f16_e64 v175, v205, v175
	v_mul_f16_e64 v205, 0xbacd, v112
	v_add_f16_e64 v207, v241, v207
	s_delay_alu instid0(VALU_DEP_3) | instskip(NEXT) | instid1(VALU_DEP_3)
	v_add_f16_e64 v163, v175, v163
	v_add_f16_e64 v164, v205, v164
	v_mul_f16_e64 v175, 0x3bf7, v123
	s_delay_alu instid0(VALU_DEP_2) | instskip(SKIP_1) | instid1(VALU_DEP_3)
	v_add_f16_e64 v152, v164, v152
	v_mul_f16_e64 v164, 0x39e9, v114
	v_sub_f16_e64 v175, v212, v175
	s_delay_alu instid0(VALU_DEP_2) | instskip(NEXT) | instid1(VALU_DEP_2)
	v_add_f16_e64 v164, v164, v177
	v_add_f16_e64 v163, v175, v163
	v_mul_f16_e64 v175, 0xb5c8, v130
	v_mul_f16_e64 v177, 0x3b29, v218
	s_delay_alu instid0(VALU_DEP_4) | instskip(SKIP_1) | instid1(VALU_DEP_4)
	v_add_f16_e64 v152, v164, v152
	v_mul_f16_e64 v164, 0x3722, v116
	v_sub_f16_e64 v175, v216, v175
	s_delay_alu instid0(VALU_DEP_4) | instskip(NEXT) | instid1(VALU_DEP_3)
	v_fma_f16 v39, v134, 0x3722, -v177
	v_add_f16_e64 v164, v164, v189
	s_delay_alu instid0(VALU_DEP_3)
	v_add_f16_e64 v163, v175, v163
	v_mul_f16_e64 v175, 0xba62, v138
	v_fma_f16 v189, 0x3722, v134, v177
	v_add_f16_e32 v38, v39, v38
	v_add_f16_e64 v152, v164, v152
	v_mul_f16_e64 v164, 0xbbdd, v118
	v_sub_f16_e64 v175, v221, v175
	v_add_f16_e64 v189, v189, v207
	v_pack_b32_f16 v27, v38, v36
	v_perm_b32 v36, v108, v32, 0x5040100
	v_add_f16_e64 v164, v164, v198
	v_add_f16_e64 v163, v175, v163
	v_mul_f16_e64 v175, 0xb1e1, v113
	v_pack_b32_f16 v86, v189, v220
	s_delay_alu instid0(VALU_DEP_4) | instskip(SKIP_1) | instid1(VALU_DEP_4)
	v_add_f16_e64 v152, v164, v152
	v_mul_f16_e64 v164, 0xbbf7, v111
	v_sub_f16_e64 v154, v154, v175
	s_delay_alu instid0(VALU_DEP_2) | instskip(SKIP_1) | instid1(VALU_DEP_2)
	v_sub_f16_e64 v144, v144, v164
	v_mul_f16_e64 v164, 0x2de8, v122
	v_add_f16_e64 v144, v91, v144
	s_delay_alu instid0(VALU_DEP_2) | instskip(NEXT) | instid1(VALU_DEP_2)
	v_add_f16_e64 v164, v164, v206
	v_add_f16_e64 v144, v154, v144
	s_delay_alu instid0(VALU_DEP_2) | instskip(SKIP_2) | instid1(VALU_DEP_2)
	v_add_f16_e64 v152, v164, v152
	v_mul_f16_e64 v164, 0x3b76, v128
	v_mul_f16_e64 v154, 0x3bb2, v115
	v_add_f16_e64 v164, v164, v214
	s_delay_alu instid0(VALU_DEP_2) | instskip(NEXT) | instid1(VALU_DEP_2)
	v_sub_f16_e64 v154, v166, v154
	v_add_f16_e64 v152, v164, v152
	v_mul_f16_e64 v164, 0xb8d2, v134
	s_delay_alu instid0(VALU_DEP_3) | instskip(SKIP_1) | instid1(VALU_DEP_3)
	v_add_f16_e64 v144, v154, v144
	v_mul_f16_e64 v154, 0x35c8, v117
	v_add_f16_e64 v164, v164, v219
	s_delay_alu instid0(VALU_DEP_2) | instskip(NEXT) | instid1(VALU_DEP_2)
	v_sub_f16_e64 v154, v178, v154
	v_add_f16_e64 v152, v164, v152
	v_mul_f16_e64 v164, 0x2de8, v110
	s_delay_alu instid0(VALU_DEP_3) | instskip(SKIP_1) | instid1(VALU_DEP_4)
	v_add_f16_e64 v144, v154, v144
	v_mul_f16_e64 v154, 0xbb29, v111
	v_pack_b32_f16 v44, v152, v163
	s_delay_alu instid0(VALU_DEP_4) | instskip(SKIP_1) | instid1(VALU_DEP_4)
	v_add_f16_e64 v142, v164, v142
	v_mul_f16_e64 v164, 0xba62, v113
	v_sub_f16_e64 v139, v139, v154
	v_mul_f16_e64 v154, 0xbbdd, v112
	s_delay_alu instid0(VALU_DEP_4) | instskip(NEXT) | instid1(VALU_DEP_4)
	v_add_f16_e64 v142, v90, v142
	v_sub_f16_e64 v147, v147, v164
	s_delay_alu instid0(VALU_DEP_4) | instskip(NEXT) | instid1(VALU_DEP_4)
	v_add_f16_e64 v139, v91, v139
	v_add_f16_e64 v150, v154, v150
	v_mul_f16_e64 v154, 0xbb29, v119
	s_delay_alu instid0(VALU_DEP_3) | instskip(SKIP_1) | instid1(VALU_DEP_3)
	v_add_f16_e64 v139, v147, v139
	v_mul_f16_e64 v147, 0x31e1, v115
	v_sub_f16_e64 v154, v190, v154
	v_add_f16_e64 v142, v150, v142
	v_mul_f16_e64 v150, 0xb461, v114
	s_delay_alu instid0(VALU_DEP_4) | instskip(NEXT) | instid1(VALU_DEP_4)
	v_sub_f16_e64 v147, v157, v147
	v_add_f16_e64 v144, v154, v144
	v_mul_f16_e64 v154, 0xb836, v123
	s_delay_alu instid0(VALU_DEP_4) | instskip(NEXT) | instid1(VALU_DEP_4)
	v_add_f16_e64 v150, v150, v161
	v_add_f16_e64 v139, v147, v139
	v_mul_f16_e64 v147, 0x3bb2, v117
	s_delay_alu instid0(VALU_DEP_4) | instskip(NEXT) | instid1(VALU_DEP_4)
	v_sub_f16_e64 v154, v200, v154
	v_add_f16_e64 v142, v150, v142
	v_mul_f16_e64 v150, 0x3b76, v116
	s_delay_alu instid0(VALU_DEP_4) | instskip(NEXT) | instid1(VALU_DEP_4)
	v_sub_f16_e64 v147, v169, v147
	v_add_f16_e64 v144, v154, v144
	v_mul_f16_e64 v154, 0x3a62, v130
	s_delay_alu instid0(VALU_DEP_4) | instskip(NEXT) | instid1(VALU_DEP_4)
	v_add_f16_e64 v150, v150, v173
	v_add_f16_e64 v139, v147, v139
	v_mul_f16_e64 v147, 0x3964, v119
	s_delay_alu instid0(VALU_DEP_4) | instskip(NEXT) | instid1(VALU_DEP_4)
	;; [unrolled: 12-line block ×3, first 2 shown]
	v_sub_f16_e64 v154, v215, v154
	v_add_f16_e64 v142, v150, v142
	v_mul_f16_e64 v150, 0xbacd, v122
	s_delay_alu instid0(VALU_DEP_4) | instskip(NEXT) | instid1(VALU_DEP_4)
	v_sub_f16_e64 v147, v191, v147
	v_add_f16_e64 v144, v154, v144
	v_mul_f16_e64 v154, 0x3722, v110
	s_delay_alu instid0(VALU_DEP_4) | instskip(NEXT) | instid1(VALU_DEP_4)
	v_add_f16_e64 v150, v150, v194
	v_add_f16_e64 v139, v147, v139
	v_mul_f16_e64 v147, 0xbbf7, v130
	s_delay_alu instid0(VALU_DEP_4)
	v_add_f16_e64 v132, v154, v132
	v_mul_f16_e64 v154, 0xb8d2, v112
	v_add_f16_e64 v142, v150, v142
	v_mul_f16_e64 v150, 0xb8d2, v128
	v_sub_f16_e64 v147, v202, v147
	v_add_f16_e64 v132, v90, v132
	v_add_f16_e64 v140, v154, v140
	s_delay_alu instid0(VALU_DEP_4) | instskip(NEXT) | instid1(VALU_DEP_4)
	v_add_f16_e64 v150, v150, v203
	v_add_f16_e64 v139, v147, v139
	v_mul_f16_e64 v147, 0xb836, v138
	s_delay_alu instid0(VALU_DEP_4) | instskip(SKIP_4) | instid1(VALU_DEP_4)
	v_add_f16_e64 v132, v140, v132
	v_mul_f16_e64 v140, 0xbbdd, v114
	v_add_f16_e64 v142, v150, v142
	v_mul_f16_e64 v150, 0x39e9, v134
	v_sub_f16_e64 v147, v209, v147
	v_add_f16_e64 v140, v140, v148
	v_mul_f16_e64 v148, 0xb964, v111
	s_delay_alu instid0(VALU_DEP_4) | instskip(NEXT) | instid1(VALU_DEP_4)
	v_add_f16_e64 v150, v150, v210
	v_add_f16_e64 v139, v147, v139
	v_mul_f16_e64 v147, 0x39e9, v110
	v_add_f16_e64 v132, v140, v132
	v_sub_f16_e64 v127, v127, v148
	v_mul_f16_e64 v140, 0xb461, v116
	v_add_f16_e64 v142, v150, v142
	v_add_f16_e64 v126, v147, v126
	v_mul_f16_e64 v147, 0xbbf7, v113
	v_add_f16_e32 v127, v91, v127
	v_add_f16_e64 v140, v140, v158
	v_pack_b32_f16 v49, v142, v144
	v_add_f16_e32 v126, v90, v126
	v_sub_f16_e64 v135, v135, v147
	v_mul_f16_e64 v147, 0x2de8, v112
	v_add_f16_e64 v132, v140, v132
	v_mul_f16_e64 v140, 0x39e9, v118
	s_delay_alu instid0(VALU_DEP_4) | instskip(NEXT) | instid1(VALU_DEP_4)
	v_add_f16_e64 v127, v135, v127
	v_add_f16_e64 v133, v147, v133
	v_mul_f16_e64 v135, 0xba62, v115
	s_delay_alu instid0(VALU_DEP_4) | instskip(NEXT) | instid1(VALU_DEP_3)
	v_add_f16_e64 v140, v140, v170
	v_add_f16_e64 v126, v133, v126
	v_mul_f16_e64 v133, 0xb8d2, v114
	s_delay_alu instid0(VALU_DEP_4) | instskip(NEXT) | instid1(VALU_DEP_4)
	v_sub_f16_e64 v135, v143, v135
	v_add_f16_e64 v132, v140, v132
	v_mul_f16_e64 v140, 0x3b76, v122
	s_delay_alu instid0(VALU_DEP_4) | instskip(NEXT) | instid1(VALU_DEP_4)
	v_add_f16_e64 v133, v133, v141
	v_add_f16_e64 v127, v135, v127
	v_mul_f16_e64 v135, 0xb1e1, v117
	s_delay_alu instid0(VALU_DEP_4) | instskip(NEXT) | instid1(VALU_DEP_4)
	v_add_f16_e64 v140, v140, v182
	v_add_f16_e64 v126, v133, v126
	v_mul_f16_e64 v133, 0xbbdd, v116
	s_delay_alu instid0(VALU_DEP_4) | instskip(NEXT) | instid1(VALU_DEP_4)
	v_sub_f16_e64 v135, v151, v135
	v_add_f16_e64 v132, v140, v132
	v_mul_f16_e64 v140, 0x2de8, v128
	s_delay_alu instid0(VALU_DEP_4) | instskip(NEXT) | instid1(VALU_DEP_4)
	v_add_f16_e64 v133, v133, v149
	v_add_f16_e64 v127, v135, v127
	v_mul_f16_e64 v135, 0x3836, v119
	s_delay_alu instid0(VALU_DEP_4) | instskip(NEXT) | instid1(VALU_DEP_4)
	;; [unrolled: 12-line block ×3, first 2 shown]
	v_add_f16_e64 v140, v140, v201
	v_add_f16_e64 v126, v133, v126
	v_mul_f16_e64 v133, 0xb461, v122
	s_delay_alu instid0(VALU_DEP_4) | instskip(NEXT) | instid1(VALU_DEP_4)
	v_sub_f16_e64 v135, v174, v135
	v_add_f16_e64 v132, v140, v132
	s_delay_alu instid0(VALU_DEP_3) | instskip(NEXT) | instid1(VALU_DEP_3)
	v_add_f16_e64 v133, v133, v171
	v_add_f16_e64 v127, v135, v127
	v_mul_f16_e64 v135, 0x3b29, v130
	s_delay_alu instid0(VALU_DEP_4) | instskip(NEXT) | instid1(VALU_DEP_4)
	v_pack_b32_f16 v42, v132, v139
	v_add_f16_e64 v126, v133, v126
	v_mul_f16_e64 v133, 0x3722, v128
	s_delay_alu instid0(VALU_DEP_4) | instskip(NEXT) | instid1(VALU_DEP_2)
	v_sub_f16_e64 v135, v186, v135
	v_add_f16_e64 v133, v133, v185
	s_delay_alu instid0(VALU_DEP_2) | instskip(NEXT) | instid1(VALU_DEP_2)
	v_add_f16_e64 v127, v135, v127
	v_add_f16_e64 v126, v133, v126
	v_mul_f16_e64 v133, 0x3b76, v134
	s_delay_alu instid0(VALU_DEP_3) | instskip(NEXT) | instid1(VALU_DEP_2)
	v_add_f16_e32 v88, v96, v127
	v_add_f16_e64 v133, v133, v195
	s_delay_alu instid0(VALU_DEP_1) | instskip(NEXT) | instid1(VALU_DEP_1)
	v_add_f16_e64 v95, v133, v126
	v_pack_b32_f16 v43, v95, v88
	ds_store_2addr_b32 v40, v25, v41 offset1:1
	ds_store_2addr_b32 v40, v43, v42 offset0:2 offset1:3
	ds_store_2addr_b32 v40, v49, v44 offset0:4 offset1:5
	;; [unrolled: 1-line block ×3, first 2 shown]
	v_pack_b32_f16 v25, v34, v33
	v_pack_b32_f16 v28, v37, v35
	v_perm_b32 v33, v109, v31, 0x5040100
	v_perm_b32 v34, v105, v104, 0x5040100
	;; [unrolled: 1-line block ×4, first 2 shown]
	ds_store_2addr_b32 v40, v26, v25 offset0:8 offset1:9
	ds_store_2addr_b32 v40, v28, v27 offset0:10 offset1:11
	;; [unrolled: 1-line block ×4, first 2 shown]
	ds_store_b32 v40, v37 offset:64
.LBB0_17:
	s_wait_alu 0xfffe
	s_or_b32 exec_lo, exec_lo, s1
	v_add_nc_u32_e32 v27, 0x200, v50
	v_add_nc_u32_e32 v28, 0x600, v50
	;; [unrolled: 1-line block ×5, first 2 shown]
	global_wb scope:SCOPE_SE
	s_wait_dscnt 0x0
	s_barrier_signal -1
	s_barrier_wait -1
	global_inv scope:SCOPE_SE
	ds_load_2addr_b32 v[25:26], v50 offset1:102
	ds_load_2addr_b32 v[39:40], v27 offset0:93 offset1:195
	ds_load_2addr_b32 v[37:38], v28 offset0:58 offset1:160
	;; [unrolled: 1-line block ×5, first 2 shown]
	s_and_saveexec_b32 s1, s0
	s_cbranch_execz .LBB0_19
; %bb.18:
	v_add_nc_u32_e32 v29, 0x680, v50
	v_add_nc_u32_e32 v30, 0xd80, v50
	ds_load_b32 v104, v50 offset:816
	ds_load_2addr_b32 v[31:32], v29 offset0:9 offset1:230
	ds_load_2addr_b32 v[29:30], v30 offset0:3 offset1:224
	ds_load_b32 v74, v50 offset:5236
	s_wait_dscnt 0x3
	v_lshrrev_b32_e32 v105, 16, v104
	s_wait_dscnt 0x2
	v_lshrrev_b32_e32 v109, 16, v31
	v_lshrrev_b32_e32 v108, 16, v32
	s_wait_dscnt 0x1
	v_lshrrev_b32_e32 v107, 16, v29
	;; [unrolled: 3-line block ×3, first 2 shown]
.LBB0_19:
	s_wait_alu 0xfffe
	s_or_b32 exec_lo, exec_lo, s1
	s_wait_dscnt 0x4
	v_lshrrev_b32_e32 v42, 16, v39
	s_wait_dscnt 0x3
	v_lshrrev_b32_e32 v43, 16, v37
	;; [unrolled: 2-line block ×5, first 2 shown]
	v_mul_f16_e32 v91, v85, v42
	v_mul_f16_e32 v85, v85, v39
	v_mul_f16_e32 v94, v84, v43
	v_lshrrev_b32_e32 v88, 16, v40
	v_lshrrev_b32_e32 v89, 16, v38
	v_fmac_f16_e32 v91, v8, v39
	v_mul_f16_e32 v39, v84, v37
	v_fma_f16 v8, v8, v42, -v85
	v_mul_f16_e32 v42, v83, v44
	v_fmac_f16_e32 v94, v9, v37
	v_mul_f16_e32 v37, v83, v35
	v_fma_f16 v9, v9, v43, -v39
	v_mul_f16_e32 v39, v82, v49
	;; [unrolled: 4-line block ×3, first 2 shown]
	v_lshrrev_b32_e32 v90, 16, v36
	v_fmac_f16_e32 v39, v11, v33
	v_mul_f16_e32 v33, v80, v27
	v_fma_f16 v11, v11, v49, -v35
	v_mul_f16_e32 v35, v81, v88
	v_fmac_f16_e32 v37, v54, v27
	v_mul_f16_e32 v27, v81, v40
	v_lshrrev_b32_e32 v92, 16, v34
	v_mul_f16_e32 v43, v79, v89
	v_fmac_f16_e32 v35, v4, v40
	v_mul_f16_e32 v40, v79, v38
	v_fma_f16 v4, v4, v88, -v27
	v_mul_f16_e32 v27, v78, v90
	v_lshrrev_b32_e32 v93, 16, v28
	v_fmac_f16_e32 v43, v5, v38
	v_mul_f16_e32 v38, v78, v36
	v_fma_f16 v5, v5, v89, -v40
	v_mul_f16_e32 v40, v77, v92
	v_fmac_f16_e32 v27, v6, v36
	v_mul_f16_e32 v36, v77, v34
	v_fma_f16 v6, v6, v90, -v38
	v_mul_f16_e32 v38, v76, v93
	v_fmac_f16_e32 v40, v7, v34
	v_lshrrev_b32_e32 v41, 16, v25
	v_fma_f16 v7, v7, v92, -v36
	v_add_f16_e32 v36, v94, v39
	v_fma_f16 v33, v54, v86, -v33
	v_mul_f16_e32 v34, v76, v28
	v_fmac_f16_e32 v38, v53, v28
	v_add_f16_e32 v28, v25, v94
	v_add_f16_e32 v44, v9, v11
	v_fma_f16 v25, -0.5, v36, v25
	v_sub_f16_e32 v36, v9, v11
	v_add_f16_e32 v9, v41, v9
	v_fma_f16 v34, v53, v93, -v34
	v_fmac_f16_e32 v41, -0.5, v44
	v_add_f16_e32 v28, v28, v39
	v_fmamk_f16 v44, v36, 0xbaee, v25
	v_fmac_f16_e32 v25, 0x3aee, v36
	v_add_f16_e32 v36, v10, v33
	v_sub_f16_e32 v39, v94, v39
	v_add_f16_e32 v49, v42, v37
	v_add_f16_e32 v53, v8, v10
	;; [unrolled: 1-line block ×3, first 2 shown]
	v_fmac_f16_e32 v8, -0.5, v36
	v_sub_f16_e32 v36, v42, v37
	v_fmamk_f16 v11, v39, 0x3aee, v41
	v_add_f16_e32 v42, v91, v42
	v_fmac_f16_e32 v91, -0.5, v49
	v_sub_f16_e32 v10, v10, v33
	v_fmac_f16_e32 v41, 0xbaee, v39
	v_fmamk_f16 v39, v36, 0x3aee, v8
	v_fmac_f16_e32 v8, 0xbaee, v36
	v_add_f16_e32 v36, v42, v37
	v_fmamk_f16 v37, v10, 0xbaee, v91
	v_fmac_f16_e32 v91, 0x3aee, v10
	v_mul_f16_e32 v10, 0xbaee, v39
	v_add_f16_e32 v33, v53, v33
	v_mul_f16_e32 v39, 0.5, v39
	v_lshrrev_b32_e32 v87, 16, v26
	v_mul_f16_e32 v42, 0xbaee, v8
	v_mul_f16_e32 v8, -0.5, v8
	v_add_f16_e32 v54, v9, v33
	v_fmac_f16_e32 v39, 0x3aee, v37
	v_sub_f16_e32 v9, v9, v33
	v_add_f16_e32 v33, v43, v40
	v_add_f16_e32 v49, v28, v36
	v_sub_f16_e32 v28, v28, v36
	v_add_f16_e32 v76, v11, v39
	v_sub_f16_e32 v11, v11, v39
	v_add_f16_e32 v36, v26, v43
	v_add_f16_e32 v39, v5, v7
	v_fmac_f16_e32 v26, -0.5, v33
	v_sub_f16_e32 v33, v5, v7
	v_fmac_f16_e32 v42, -0.5, v91
	v_fmac_f16_e32 v8, 0x3aee, v91
	v_add_f16_e32 v36, v36, v40
	v_add_f16_e32 v5, v87, v5
	v_fmac_f16_e32 v87, -0.5, v39
	v_sub_f16_e32 v39, v43, v40
	v_fmamk_f16 v40, v33, 0xbaee, v26
	v_fmac_f16_e32 v26, 0x3aee, v33
	v_add_f16_e32 v33, v6, v34
	v_add_f16_e32 v53, v25, v42
	v_add_f16_e32 v77, v41, v8
	v_sub_f16_e32 v25, v25, v42
	v_sub_f16_e32 v8, v41, v8
	v_add_f16_e32 v41, v27, v38
	v_add_f16_e32 v42, v4, v6
	v_fmac_f16_e32 v4, -0.5, v33
	v_sub_f16_e32 v33, v27, v38
	v_add_f16_e32 v5, v5, v7
	v_fmamk_f16 v7, v39, 0x3aee, v87
	v_add_f16_e32 v27, v35, v27
	v_fmac_f16_e32 v35, -0.5, v41
	v_sub_f16_e32 v6, v6, v34
	v_fmac_f16_e32 v87, 0xbaee, v39
	v_fmamk_f16 v39, v33, 0x3aee, v4
	v_fmac_f16_e32 v4, 0xbaee, v33
	v_fmac_f16_e32 v10, 0.5, v37
	v_fmamk_f16 v33, v6, 0xbaee, v35
	v_fmac_f16_e32 v35, 0x3aee, v6
	v_mul_f16_e32 v6, 0xbaee, v39
	v_mul_f16_e32 v39, 0.5, v39
	v_add_f16_e32 v27, v27, v38
	v_mul_f16_e32 v38, 0xbaee, v4
	v_mul_f16_e32 v4, -0.5, v4
	v_add_f16_e32 v37, v44, v10
	v_add_f16_e32 v34, v42, v34
	v_fmac_f16_e32 v6, 0.5, v33
	v_fmac_f16_e32 v39, 0x3aee, v33
	v_fmac_f16_e32 v38, -0.5, v35
	v_fmac_f16_e32 v4, 0x3aee, v35
	v_add_f16_e32 v41, v36, v27
	v_add_f16_e32 v42, v5, v34
	v_sub_f16_e32 v27, v36, v27
	v_sub_f16_e32 v5, v5, v34
	v_pack_b32_f16 v34, v49, v54
	v_pack_b32_f16 v36, v37, v76
	v_sub_f16_e32 v10, v44, v10
	v_add_f16_e32 v33, v40, v6
	v_add_f16_e32 v43, v7, v39
	;; [unrolled: 1-line block ×4, first 2 shown]
	v_sub_f16_e32 v6, v40, v6
	v_sub_f16_e32 v26, v26, v38
	;; [unrolled: 1-line block ×4, first 2 shown]
	global_wb scope:SCOPE_SE
	s_barrier_signal -1
	s_barrier_wait -1
	global_inv scope:SCOPE_SE
	ds_store_2addr_b32 v61, v34, v36 offset1:17
	v_pack_b32_f16 v34, v53, v77
	v_pack_b32_f16 v9, v28, v9
	;; [unrolled: 1-line block ×10, first 2 shown]
	ds_store_2addr_b32 v61, v34, v9 offset0:34 offset1:51
	ds_store_2addr_b32 v61, v10, v8 offset0:68 offset1:85
	ds_store_2addr_b32 v60, v11, v25 offset1:17
	ds_store_2addr_b32 v60, v28, v5 offset0:34 offset1:51
	ds_store_2addr_b32 v60, v6, v4 offset0:68 offset1:85
	s_and_saveexec_b32 s1, s0
	s_cbranch_execz .LBB0_21
; %bb.20:
	v_mul_f16_e32 v4, v55, v32
	v_mul_f16_e32 v5, v56, v30
	;; [unrolled: 1-line block ×5, first 2 shown]
	v_fma_f16 v4, v1, v108, -v4
	v_fma_f16 v5, v3, v106, -v5
	v_mul_f16_e32 v9, v58, v75
	v_mul_f16_e32 v10, v57, v31
	v_fma_f16 v7, v2, v107, -v7
	v_fma_f16 v8, v51, v75, -v8
	v_mul_f16_e32 v26, v55, v108
	v_mul_f16_e32 v27, v56, v106
	v_add_f16_e32 v11, v4, v5
	v_mul_f16_e32 v25, v57, v109
	v_fmac_f16_e32 v6, v2, v29
	v_fmac_f16_e32 v9, v51, v74
	v_fma_f16 v2, v0, v109, -v10
	v_add_f16_e32 v10, v7, v8
	v_fmac_f16_e32 v26, v1, v32
	v_fmac_f16_e32 v27, v3, v30
	;; [unrolled: 1-line block ×3, first 2 shown]
	v_add_f16_e32 v0, v6, v9
	v_fma_f16 v10, -0.5, v10, v2
	v_sub_f16_e32 v28, v6, v9
	v_fma_f16 v11, -0.5, v11, v105
	v_sub_f16_e32 v29, v26, v27
	v_add_f16_e32 v33, v26, v27
	v_fma_f16 v0, -0.5, v0, v25
	v_sub_f16_e32 v1, v7, v8
	v_fmamk_f16 v3, v28, 0xbaee, v10
	v_fmac_f16_e32 v10, 0x3aee, v28
	v_fmamk_f16 v28, v29, 0xbaee, v11
	v_fmac_f16_e32 v11, 0x3aee, v29
	v_add_f16_e32 v29, v105, v4
	v_add_f16_e32 v2, v2, v7
	v_fma_f16 v7, -0.5, v33, v104
	v_sub_f16_e32 v4, v4, v5
	v_fmamk_f16 v30, v1, 0x3aee, v0
	v_fmac_f16_e32 v0, 0xbaee, v1
	v_mul_f16_e32 v1, 0.5, v10
	v_add_f16_e32 v2, v2, v8
	v_fmamk_f16 v8, v4, 0x3aee, v7
	v_mul_f16_e32 v10, 0xbaee, v10
	v_fmac_f16_e32 v7, 0xbaee, v4
	v_add_f16_e32 v4, v104, v26
	v_add_f16_e32 v6, v25, v6
	v_mul_f16_e32 v31, -0.5, v3
	v_mul_f16_e32 v3, 0xbaee, v3
	v_fmac_f16_e32 v1, 0x3aee, v0
	v_add_f16_e32 v5, v29, v5
	v_fmac_f16_e32 v10, 0.5, v0
	v_add_f16_e32 v4, v4, v27
	v_add_f16_e32 v6, v6, v9
	v_fmac_f16_e32 v31, 0x3aee, v30
	v_fmac_f16_e32 v3, -0.5, v30
	v_sub_f16_e32 v33, v11, v1
	v_sub_f16_e32 v0, v5, v2
	;; [unrolled: 1-line block ×3, first 2 shown]
	v_add_f16_e32 v1, v11, v1
	v_add_f16_e32 v2, v5, v2
	;; [unrolled: 1-line block ×4, first 2 shown]
	v_lshl_add_u32 v10, v52, 2, v47
	v_sub_f16_e32 v25, v8, v3
	v_add_f16_e32 v26, v28, v31
	v_add_f16_e32 v3, v8, v3
	v_sub_f16_e32 v4, v4, v6
	v_sub_f16_e32 v32, v28, v31
	v_pack_b32_f16 v2, v5, v2
	v_pack_b32_f16 v1, v7, v1
	v_add_nc_u32_e32 v5, 0x1000, v10
	v_pack_b32_f16 v3, v3, v26
	v_pack_b32_f16 v0, v4, v0
	;; [unrolled: 1-line block ×4, first 2 shown]
	v_add_nc_u32_e32 v7, 0x1400, v10
	ds_store_2addr_b32 v5, v2, v1 offset0:200 offset1:217
	ds_store_2addr_b32 v5, v3, v0 offset0:234 offset1:251
	;; [unrolled: 1-line block ×3, first 2 shown]
.LBB0_21:
	s_wait_alu 0xfffe
	s_or_b32 exec_lo, exec_lo, s1
	v_add_nc_u32_e32 v0, 0x200, v50
	global_wb scope:SCOPE_SE
	s_wait_dscnt 0x0
	s_barrier_signal -1
	s_barrier_wait -1
	global_inv scope:SCOPE_SE
	ds_load_2addr_b32 v[8:9], v50 offset1:102
	ds_load_2addr_b32 v[0:1], v0 offset0:76 offset1:178
	v_add_nc_u32_e32 v2, 0x400, v50
	v_add_nc_u32_e32 v4, 0x800, v50
	;; [unrolled: 1-line block ×4, first 2 shown]
	ds_load_2addr_b32 v[2:3], v2 offset0:152 offset1:254
	ds_load_2addr_b32 v[4:5], v4 offset0:100 offset1:202
	;; [unrolled: 1-line block ×4, first 2 shown]
	ds_load_b32 v27, v50 offset:4896
	s_wait_dscnt 0x6
	v_lshrrev_b32_e32 v6, 16, v9
	s_wait_dscnt 0x5
	v_lshrrev_b32_e32 v7, 16, v0
	v_lshrrev_b32_e32 v29, 16, v1
	v_mul_f16_e32 v40, v73, v9
	v_mul_f16_e32 v42, v72, v0
	;; [unrolled: 1-line block ×4, first 2 shown]
	s_wait_dscnt 0x4
	v_lshrrev_b32_e32 v30, 16, v2
	v_lshrrev_b32_e32 v31, 16, v3
	;; [unrolled: 1-line block ×3, first 2 shown]
	v_fmac_f16_e32 v38, v20, v9
	v_mul_f16_e32 v9, v71, v29
	v_fmac_f16_e32 v41, v21, v0
	v_mul_f16_e32 v0, v71, v1
	s_wait_dscnt 0x3
	v_lshrrev_b32_e32 v32, 16, v4
	v_fma_f16 v20, v20, v6, -v40
	v_fmac_f16_e32 v9, v22, v1
	v_mul_f16_e32 v40, v70, v30
	v_mul_f16_e32 v1, v70, v2
	;; [unrolled: 1-line block ×3, first 2 shown]
	v_fma_f16 v22, v22, v29, -v0
	v_mul_f16_e32 v0, v69, v3
	v_fma_f16 v21, v21, v7, -v42
	v_fmac_f16_e32 v40, v23, v2
	v_fma_f16 v23, v23, v30, -v1
	v_fmac_f16_e32 v6, v16, v3
	v_mul_f16_e32 v2, v68, v32
	v_fma_f16 v7, v16, v31, -v0
	v_mul_f16_e32 v0, v68, v4
	v_add_f16_e32 v1, v8, v38
	v_add_f16_e32 v16, v28, v20
	v_fmac_f16_e32 v2, v17, v4
	v_lshrrev_b32_e32 v33, 16, v5
	v_fma_f16 v4, v17, v32, -v0
	v_add_f16_e32 v0, v1, v41
	v_add_f16_e32 v1, v16, v21
	s_wait_dscnt 0x2
	v_lshrrev_b32_e32 v34, 16, v10
	v_lshrrev_b32_e32 v35, 16, v11
	v_mul_f16_e32 v3, v67, v33
	v_mul_f16_e32 v16, v67, v5
	v_add_f16_e32 v1, v1, v22
	v_mul_f16_e32 v17, v66, v34
	v_add_f16_e32 v0, v0, v9
	s_wait_dscnt 0x1
	v_lshrrev_b32_e32 v36, 16, v25
	v_fmac_f16_e32 v3, v18, v5
	v_add_f16_e32 v1, v1, v23
	v_fma_f16 v5, v18, v33, -v16
	v_mul_f16_e32 v16, v66, v10
	v_fmac_f16_e32 v17, v19, v10
	v_add_f16_e32 v0, v0, v40
	v_mul_f16_e32 v10, v65, v35
	v_mul_f16_e32 v18, v65, v11
	v_add_f16_e32 v1, v1, v7
	v_lshrrev_b32_e32 v37, 16, v26
	v_add_f16_e32 v0, v0, v6
	v_fmac_f16_e32 v10, v12, v11
	v_mul_f16_e32 v11, v64, v36
	v_fma_f16 v12, v12, v35, -v18
	v_add_f16_e32 v1, v1, v4
	v_mul_f16_e32 v18, v64, v25
	s_wait_dscnt 0x0
	v_lshrrev_b32_e32 v39, 16, v27
	v_fma_f16 v16, v19, v34, -v16
	v_add_f16_e32 v0, v0, v2
	v_fmac_f16_e32 v11, v13, v25
	v_add_f16_e32 v1, v1, v5
	v_fma_f16 v13, v13, v36, -v18
	v_mul_f16_e32 v18, v63, v27
	v_mul_f16_e32 v19, v62, v37
	v_add_f16_e32 v0, v0, v3
	v_add_f16_e32 v1, v1, v16
	v_mul_f16_e32 v25, v63, v39
	v_fma_f16 v18, v15, v39, -v18
	v_fmac_f16_e32 v19, v14, v26
	v_add_f16_e32 v0, v0, v17
	v_mul_f16_e32 v26, v62, v26
	v_add_f16_e32 v1, v1, v12
	v_fmac_f16_e32 v25, v15, v27
	v_sub_f16_e32 v15, v20, v18
	v_add_f16_e32 v0, v0, v10
	v_fma_f16 v14, v14, v37, -v26
	v_add_f16_e32 v1, v1, v13
	v_add_f16_e32 v26, v38, v25
	v_mul_f16_e32 v27, 0xb770, v15
	v_add_f16_e32 v0, v0, v11
	v_add_f16_e32 v20, v20, v18
	;; [unrolled: 1-line block ×3, first 2 shown]
	v_sub_f16_e32 v53, v21, v14
	v_fmamk_f16 v30, v26, 0x3b15, v27
	v_add_f16_e32 v0, v0, v19
	v_sub_f16_e32 v29, v38, v25
	v_mul_f16_e32 v31, 0x3b15, v20
	v_add_f16_e32 v1, v1, v18
	v_add_f16_e32 v18, v8, v30
	v_mul_f16_e32 v30, 0xba95, v15
	v_mul_f16_e32 v32, 0x388b, v20
	;; [unrolled: 1-line block ×10, first 2 shown]
	v_add_f16_e32 v55, v41, v19
	v_mul_f16_e32 v56, 0xba95, v53
	v_add_f16_e32 v14, v21, v14
	v_add_f16_e32 v0, v0, v25
	v_fmamk_f16 v25, v29, 0x3770, v31
	v_fma_f16 v27, v26, 0x3b15, -v27
	v_fmac_f16_e32 v31, 0xb770, v29
	v_fmamk_f16 v33, v26, 0x388b, v30
	v_fmamk_f16 v34, v29, 0x3a95, v32
	v_fma_f16 v30, v26, 0x388b, -v30
	v_fmac_f16_e32 v32, 0xba95, v29
	v_fmamk_f16 v36, v26, 0x2fb7, v35
	;; [unrolled: 4-line block ×5, first 2 shown]
	v_fmamk_f16 v54, v29, 0x33a8, v20
	v_fma_f16 v15, v26, 0xbbc4, -v15
	v_fmac_f16_e32 v20, 0xb3a8, v29
	v_sub_f16_e32 v19, v41, v19
	v_fmamk_f16 v21, v55, 0x388b, v56
	v_mul_f16_e32 v26, 0x388b, v14
	v_add_f16_e32 v25, v28, v25
	v_add_f16_e32 v27, v8, v27
	;; [unrolled: 1-line block ×24, first 2 shown]
	v_fmamk_f16 v20, v19, 0x3a95, v26
	v_mul_f16_e32 v21, 0xbb7b, v53
	v_fma_f16 v28, v55, 0x388b, -v56
	v_fmac_f16_e32 v26, 0xba95, v19
	v_mul_f16_e32 v41, 0xb5ac, v14
	v_add_f16_e32 v20, v20, v25
	v_fmamk_f16 v25, v55, 0xb5ac, v21
	v_add_f16_e32 v27, v28, v27
	v_add_f16_e32 v26, v26, v31
	v_fmamk_f16 v28, v19, 0x3b7b, v41
	v_mul_f16_e32 v31, 0xb3a8, v53
	v_add_f16_e32 v25, v25, v33
	v_fma_f16 v21, v55, 0xb5ac, -v21
	v_fmac_f16_e32 v41, 0xbb7b, v19
	v_add_f16_e32 v28, v28, v34
	v_fmamk_f16 v33, v55, 0xbbc4, v31
	v_mul_f16_e32 v34, 0xbbc4, v14
	v_add_f16_e32 v21, v21, v30
	v_add_f16_e32 v30, v41, v32
	v_mul_f16_e32 v32, 0x394e, v53
	v_add_f16_e32 v33, v33, v36
	v_fmamk_f16 v36, v19, 0x33a8, v34
	v_fmac_f16_e32 v34, 0xb3a8, v19
	v_mul_f16_e32 v54, 0xb9fd, v14
	v_fma_f16 v31, v55, 0xbbc4, -v31
	v_fmamk_f16 v41, v55, 0xb9fd, v32
	v_add_f16_e32 v36, v36, v39
	v_add_f16_e32 v34, v34, v37
	v_fmamk_f16 v37, v19, 0xb94e, v54
	v_mul_f16_e32 v39, 0x3bf1, v53
	v_add_f16_e32 v31, v31, v35
	v_add_f16_e32 v35, v41, v42
	v_fma_f16 v32, v55, 0xb9fd, -v32
	v_mul_f16_e32 v41, 0x2fb7, v14
	v_add_f16_e32 v37, v37, v44
	v_fmamk_f16 v42, v55, 0x2fb7, v39
	v_mul_f16_e32 v44, 0x3770, v53
	v_fma_f16 v39, v55, 0x2fb7, -v39
	v_add_f16_e32 v32, v32, v38
	v_fmamk_f16 v38, v19, 0xbbf1, v41
	v_add_f16_e32 v42, v42, v50
	v_fmac_f16_e32 v41, 0x3bf1, v19
	v_fmamk_f16 v50, v55, 0x3b15, v44
	v_add_f16_e32 v39, v39, v47
	v_sub_f16_e32 v47, v22, v13
	v_add_f16_e32 v38, v38, v51
	v_mul_f16_e32 v14, 0x3b15, v14
	v_add_f16_e32 v41, v41, v49
	v_add_f16_e32 v49, v50, v52
	v_add_f16_e32 v51, v9, v11
	v_mul_f16_e32 v52, 0xbbf1, v47
	v_add_f16_e32 v13, v22, v13
	v_fmac_f16_e32 v54, 0x394e, v19
	v_fmamk_f16 v50, v19, 0xb770, v14
	v_fma_f16 v22, v55, 0x3b15, -v44
	v_fmac_f16_e32 v14, 0x3770, v19
	v_sub_f16_e32 v9, v9, v11
	v_fmamk_f16 v11, v51, 0x2fb7, v52
	v_mul_f16_e32 v19, 0x2fb7, v13
	v_add_f16_e32 v8, v22, v8
	v_add_f16_e32 v14, v14, v15
	v_fma_f16 v22, v51, 0x2fb7, -v52
	v_add_f16_e32 v11, v11, v18
	v_fmamk_f16 v15, v9, 0x3bf1, v19
	v_mul_f16_e32 v18, 0xb3a8, v47
	v_fmac_f16_e32 v19, 0xbbf1, v9
	v_mul_f16_e32 v44, 0xbbc4, v13
	v_add_f16_e32 v22, v22, v27
	v_add_f16_e32 v15, v15, v20
	v_fmamk_f16 v20, v51, 0xbbc4, v18
	v_add_f16_e32 v19, v19, v26
	v_fmamk_f16 v26, v9, 0x33a8, v44
	v_mul_f16_e32 v27, 0x3b7b, v47
	v_fma_f16 v18, v51, 0xbbc4, -v18
	v_fmac_f16_e32 v44, 0xb3a8, v9
	v_add_f16_e32 v20, v20, v25
	v_add_f16_e32 v25, v26, v28
	v_fmamk_f16 v26, v51, 0xb5ac, v27
	v_mul_f16_e32 v28, 0xb5ac, v13
	v_add_f16_e32 v18, v18, v21
	v_add_f16_e32 v21, v44, v30
	v_mul_f16_e32 v30, 0x3770, v47
	v_add_f16_e32 v29, v50, v29
	v_add_f16_e32 v26, v26, v33
	v_fmamk_f16 v33, v9, 0xbb7b, v28
	v_fma_f16 v27, v51, 0xb5ac, -v27
	v_fmac_f16_e32 v28, 0x3b7b, v9
	v_fmamk_f16 v44, v51, 0x3b15, v30
	v_mul_f16_e32 v50, 0x3b15, v13
	v_add_f16_e32 v33, v33, v36
	v_add_f16_e32 v27, v27, v31
	;; [unrolled: 1-line block ×4, first 2 shown]
	v_fmamk_f16 v34, v9, 0xb770, v50
	v_mul_f16_e32 v35, 0xba95, v47
	v_fma_f16 v30, v51, 0x3b15, -v30
	v_mul_f16_e32 v36, 0x388b, v13
	v_mul_f16_e32 v44, 0xb94e, v47
	v_add_f16_e32 v34, v34, v37
	v_fmamk_f16 v37, v51, 0x388b, v35
	v_fma_f16 v35, v51, 0x388b, -v35
	v_add_f16_e32 v30, v30, v32
	v_fmamk_f16 v32, v9, 0x3a95, v36
	v_fmac_f16_e32 v36, 0xba95, v9
	v_add_f16_e32 v37, v37, v42
	v_add_f16_e32 v35, v35, v39
	v_sub_f16_e32 v39, v23, v12
	v_mul_f16_e32 v13, 0xb9fd, v13
	v_add_f16_e32 v42, v40, v10
	v_add_f16_e32 v12, v23, v12
	v_fmac_f16_e32 v50, 0x3770, v9
	v_mul_f16_e32 v47, 0xbb7b, v39
	v_add_f16_e32 v36, v36, v41
	v_fmamk_f16 v41, v9, 0x394e, v13
	v_fma_f16 v23, v51, 0xb9fd, -v44
	v_fmac_f16_e32 v13, 0xb94e, v9
	v_sub_f16_e32 v9, v40, v10
	v_fmamk_f16 v10, v42, 0xb5ac, v47
	v_mul_f16_e32 v40, 0xb5ac, v12
	v_add_f16_e32 v29, v41, v29
	v_add_f16_e32 v8, v23, v8
	;; [unrolled: 1-line block ×4, first 2 shown]
	v_fmamk_f16 v11, v9, 0x3b7b, v40
	v_mul_f16_e32 v14, 0x394e, v39
	v_fma_f16 v23, v42, 0xb5ac, -v47
	v_fmac_f16_e32 v40, 0xbb7b, v9
	v_mul_f16_e32 v41, 0xb9fd, v12
	v_add_f16_e32 v11, v11, v15
	v_fmamk_f16 v15, v42, 0xb9fd, v14
	v_add_f16_e32 v22, v23, v22
	v_add_f16_e32 v19, v40, v19
	v_fmamk_f16 v23, v9, 0xb94e, v41
	v_mul_f16_e32 v40, 0x3770, v39
	v_fma_f16 v14, v42, 0xb9fd, -v14
	v_fmac_f16_e32 v41, 0x394e, v9
	v_add_f16_e32 v15, v15, v20
	v_add_f16_e32 v20, v23, v25
	v_fmamk_f16 v23, v42, 0x3b15, v40
	v_mul_f16_e32 v25, 0x3b15, v12
	v_add_f16_e32 v14, v14, v18
	v_add_f16_e32 v18, v41, v21
	v_mul_f16_e32 v21, 0xbbf1, v39
	v_add_f16_e32 v32, v32, v38
	v_fmamk_f16 v38, v51, 0xb9fd, v44
	v_add_f16_e32 v23, v23, v26
	v_fmamk_f16 v26, v9, 0xb770, v25
	v_fma_f16 v40, v42, 0x3b15, -v40
	v_fmac_f16_e32 v25, 0x3770, v9
	v_fmamk_f16 v41, v42, 0x2fb7, v21
	v_mul_f16_e32 v44, 0x2fb7, v12
	v_add_f16_e32 v26, v26, v33
	v_add_f16_e32 v27, v40, v27
	;; [unrolled: 1-line block ×4, first 2 shown]
	v_fmamk_f16 v31, v9, 0x3bf1, v44
	v_mul_f16_e32 v33, 0x33a8, v39
	v_mul_f16_e32 v40, 0xbbc4, v12
	v_mul_f16_e32 v39, 0x3a95, v39
	v_add_f16_e32 v38, v38, v49
	v_add_f16_e32 v31, v31, v34
	v_fmamk_f16 v34, v42, 0xbbc4, v33
	v_fmamk_f16 v41, v9, 0xb3a8, v40
	v_fma_f16 v33, v42, 0xbbc4, -v33
	v_fmac_f16_e32 v40, 0x33a8, v9
	v_mul_f16_e32 v12, 0x388b, v12
	v_add_f16_e32 v34, v34, v37
	v_fmamk_f16 v37, v42, 0x388b, v39
	v_add_f16_e32 v33, v33, v35
	v_add_f16_e32 v35, v40, v36
	v_sub_f16_e32 v36, v7, v16
	v_add_f16_e32 v7, v7, v16
	v_fmac_f16_e32 v44, 0xbbf1, v9
	v_add_f16_e32 v37, v37, v38
	v_fmamk_f16 v38, v9, 0xba95, v12
	v_add_f16_e32 v40, v6, v17
	v_mul_f16_e32 v16, 0xb94e, v36
	v_fmac_f16_e32 v12, 0x3a95, v9
	v_sub_f16_e32 v6, v6, v17
	v_mul_f16_e32 v9, 0xb9fd, v7
	v_add_f16_e32 v29, v38, v29
	v_fmamk_f16 v17, v40, 0xb9fd, v16
	v_add_f16_e32 v12, v12, v13
	v_fma_f16 v16, v40, 0xb9fd, -v16
	v_fmamk_f16 v13, v6, 0x394e, v9
	v_fmac_f16_e32 v9, 0xb94e, v6
	v_add_f16_e32 v10, v17, v10
	v_mul_f16_e32 v17, 0x3bf1, v36
	v_add_f16_e32 v16, v16, v22
	v_add_f16_e32 v11, v13, v11
	v_mul_f16_e32 v13, 0x2fb7, v7
	v_add_f16_e32 v9, v9, v19
	v_fmamk_f16 v38, v40, 0x2fb7, v17
	v_mul_f16_e32 v19, 0xba95, v36
	v_add_f16_e32 v43, v54, v43
	v_fmamk_f16 v22, v6, 0xbbf1, v13
	v_fma_f16 v17, v40, 0x2fb7, -v17
	v_add_f16_e32 v15, v38, v15
	v_fmac_f16_e32 v13, 0x3bf1, v6
	v_fmamk_f16 v38, v40, 0x388b, v19
	v_add_f16_e32 v20, v22, v20
	v_mul_f16_e32 v22, 0x388b, v7
	v_add_f16_e32 v43, v50, v43
	v_fma_f16 v21, v42, 0x2fb7, -v21
	v_fma_f16 v39, v42, 0x388b, -v39
	v_add_f16_e32 v14, v17, v14
	v_add_f16_e32 v13, v13, v18
	v_add_f16_e32 v17, v38, v23
	v_mul_f16_e32 v18, 0x33a8, v36
	v_fmamk_f16 v23, v6, 0x3a95, v22
	v_fma_f16 v19, v40, 0x388b, -v19
	v_fmac_f16_e32 v22, 0xba95, v6
	v_mul_f16_e32 v38, 0xbbc4, v7
	v_add_f16_e32 v21, v21, v30
	v_add_f16_e32 v30, v44, v43
	;; [unrolled: 1-line block ×3, first 2 shown]
	v_fmamk_f16 v39, v40, 0xbbc4, v18
	v_add_f16_e32 v19, v19, v27
	v_add_f16_e32 v22, v22, v25
	v_fmamk_f16 v25, v6, 0xb3a8, v38
	v_mul_f16_e32 v27, 0x3770, v36
	v_fma_f16 v18, v40, 0xbbc4, -v18
	v_fmac_f16_e32 v38, 0x33a8, v6
	v_add_f16_e32 v23, v23, v26
	v_add_f16_e32 v25, v25, v31
	v_fmamk_f16 v31, v40, 0x3b15, v27
	v_add_f16_e32 v18, v18, v21
	v_add_f16_e32 v21, v38, v30
	v_mul_f16_e32 v30, 0xbb7b, v36
	v_add_f16_e32 v26, v39, v28
	v_mul_f16_e32 v28, 0x3b15, v7
	v_add_f16_e32 v31, v31, v34
	v_fma_f16 v27, v40, 0x3b15, -v27
	v_fmamk_f16 v34, v40, 0xb5ac, v30
	v_add_f16_e32 v32, v41, v32
	v_fmamk_f16 v36, v6, 0xb770, v28
	v_fmac_f16_e32 v28, 0x3770, v6
	v_mul_f16_e32 v7, 0xb5ac, v7
	v_add_f16_e32 v27, v27, v33
	v_add_f16_e32 v33, v34, v37
	v_sub_f16_e32 v34, v4, v5
	v_add_f16_e32 v4, v4, v5
	v_add_f16_e32 v32, v36, v32
	;; [unrolled: 1-line block ×3, first 2 shown]
	v_fmamk_f16 v35, v6, 0x3b7b, v7
	v_fma_f16 v30, v40, 0xb5ac, -v30
	v_add_f16_e32 v5, v2, v3
	v_mul_f16_e32 v36, 0xb3a8, v34
	v_fmac_f16_e32 v7, 0xbb7b, v6
	v_sub_f16_e32 v2, v2, v3
	v_mul_f16_e32 v3, 0xbbc4, v4
	v_add_f16_e32 v6, v35, v29
	v_fmamk_f16 v29, v5, 0xbbc4, v36
	v_add_f16_e32 v8, v30, v8
	v_add_f16_e32 v7, v7, v12
	v_fmamk_f16 v12, v2, 0x33a8, v3
	v_mul_f16_e32 v30, 0x3770, v34
	v_fmac_f16_e32 v3, 0xb3a8, v2
	v_add_f16_e32 v10, v29, v10
	v_fma_f16 v29, v5, 0xbbc4, -v36
	v_add_f16_e32 v11, v12, v11
	v_fmamk_f16 v12, v5, 0x3b15, v30
	v_mul_f16_e32 v35, 0x3b15, v4
	v_add_f16_e32 v9, v3, v9
	v_mul_f16_e32 v3, 0xb94e, v34
	v_add_f16_e32 v16, v29, v16
	v_add_f16_e32 v12, v12, v15
	v_fmamk_f16 v15, v2, 0xb770, v35
	v_fma_f16 v29, v5, 0x3b15, -v30
	v_fmamk_f16 v30, v5, 0xb9fd, v3
	v_mul_f16_e32 v36, 0xb9fd, v4
	v_fmac_f16_e32 v35, 0x3770, v2
	v_add_f16_e32 v15, v15, v20
	v_add_f16_e32 v14, v29, v14
	;; [unrolled: 1-line block ×3, first 2 shown]
	v_fmamk_f16 v20, v2, 0x394e, v36
	v_mul_f16_e32 v29, 0x3a95, v34
	v_fma_f16 v3, v5, 0xb9fd, -v3
	v_mul_f16_e32 v30, 0x388b, v4
	v_add_f16_e32 v13, v35, v13
	v_add_f16_e32 v20, v20, v23
	v_fmamk_f16 v23, v5, 0x388b, v29
	v_add_f16_e32 v19, v3, v19
	v_fmamk_f16 v3, v2, 0xba95, v30
	v_mul_f16_e32 v35, 0xbb7b, v34
	v_fmac_f16_e32 v30, 0x3a95, v2
	v_add_f16_e32 v23, v23, v26
	v_fma_f16 v26, v5, 0x388b, -v29
	v_add_f16_e32 v3, v3, v25
	v_fmamk_f16 v25, v5, 0xb5ac, v35
	v_mul_f16_e32 v29, 0xb5ac, v4
	v_mul_f16_e32 v4, 0x2fb7, v4
	v_add_f16_e32 v18, v26, v18
	v_mul_f16_e32 v26, 0x3bf1, v34
	v_add_f16_e32 v25, v25, v31
	v_fma_f16 v31, v5, 0xb5ac, -v35
	v_add_f16_e32 v21, v30, v21
	v_fmamk_f16 v30, v2, 0x3b7b, v29
	v_fmac_f16_e32 v29, 0xbb7b, v2
	v_fmamk_f16 v34, v5, 0x2fb7, v26
	v_add_f16_e32 v27, v31, v27
	v_fmamk_f16 v31, v2, 0xbbf1, v4
	v_fma_f16 v5, v5, 0x2fb7, -v26
	v_fmac_f16_e32 v4, 0x3bf1, v2
	v_fmac_f16_e32 v36, 0xb94e, v2
	v_pack_b32_f16 v0, v0, v1
	v_add_f16_e32 v30, v30, v32
	v_add_f16_e32 v28, v29, v28
	;; [unrolled: 1-line block ×3, first 2 shown]
	v_pack_b32_f16 v1, v10, v11
	v_pack_b32_f16 v2, v12, v15
	v_add_f16_e32 v6, v31, v6
	v_add_f16_e32 v5, v5, v8
	;; [unrolled: 1-line block ×4, first 2 shown]
	ds_store_b32 v48, v0
	ds_store_2addr_b32 v48, v1, v2 offset0:102 offset1:204
	v_pack_b32_f16 v7, v17, v20
	v_pack_b32_f16 v8, v23, v3
	v_add_nc_u32_e32 v3, 0x400, v48
	v_add_nc_u32_e32 v2, 0xa00, v48
	;; [unrolled: 1-line block ×4, first 2 shown]
	v_pack_b32_f16 v10, v25, v30
	v_pack_b32_f16 v6, v29, v6
	v_add_nc_u32_e32 v11, 0x600, v48
	v_pack_b32_f16 v4, v5, v4
	v_pack_b32_f16 v5, v27, v28
	v_pack_b32_f16 v12, v18, v21
	v_pack_b32_f16 v15, v19, v22
	v_pack_b32_f16 v13, v14, v13
	v_pack_b32_f16 v9, v16, v9
	ds_store_2addr_b32 v3, v7, v8 offset0:50 offset1:152
	ds_store_2addr_b32 v11, v10, v6 offset0:126 offset1:228
	;; [unrolled: 1-line block ×5, first 2 shown]
	global_wb scope:SCOPE_SE
	s_wait_dscnt 0x0
	s_barrier_signal -1
	s_barrier_wait -1
	global_inv scope:SCOPE_SE
	s_and_b32 exec_lo, exec_lo, vcc_lo
	s_cbranch_execz .LBB0_23
; %bb.22:
	global_load_b32 v4, v45, s[8:9]
	ds_load_b32 v5, v48
	s_mov_b32 s10, 0x18b64019
	s_mov_b32 s11, 0x3f48b640
	v_mad_co_u64_u32 v[10:11], null, s4, v46, 0
	s_wait_dscnt 0x0
	v_lshrrev_b32_e32 v6, 16, v5
	s_wait_loadcnt 0x0
	v_lshrrev_b32_e32 v7, 16, v4
	s_delay_alu instid0(VALU_DEP_1) | instskip(SKIP_1) | instid1(VALU_DEP_2)
	v_mul_f16_e32 v8, v6, v7
	v_mul_f16_e32 v7, v5, v7
	v_fmac_f16_e32 v8, v5, v4
	s_delay_alu instid0(VALU_DEP_2) | instskip(NEXT) | instid1(VALU_DEP_2)
	v_fma_f16 v4, v4, v6, -v7
	v_cvt_f32_f16_e32 v5, v8
	s_delay_alu instid0(VALU_DEP_2) | instskip(SKIP_1) | instid1(VALU_DEP_3)
	v_cvt_f32_f16_e32 v6, v4
	v_mad_co_u64_u32 v[8:9], null, s6, v24, 0
	v_cvt_f64_f32_e32 v[4:5], v5
	s_delay_alu instid0(VALU_DEP_3) | instskip(SKIP_1) | instid1(VALU_DEP_2)
	v_cvt_f64_f32_e32 v[6:7], v6
	s_wait_alu 0xfffe
	v_mul_f64_e32 v[4:5], s[10:11], v[4:5]
	s_delay_alu instid0(VALU_DEP_2) | instskip(NEXT) | instid1(VALU_DEP_2)
	v_mul_f64_e32 v[6:7], s[10:11], v[6:7]
	v_and_or_b32 v4, 0x1ff, v5, v4
	s_delay_alu instid0(VALU_DEP_2)
	v_and_or_b32 v6, 0x1ff, v7, v6
	v_lshrrev_b32_e32 v12, 8, v5
	v_bfe_u32 v14, v5, 20, 11
	v_lshrrev_b32_e32 v13, 8, v7
	v_cmp_ne_u32_e32 vcc_lo, 0, v4
	v_bfe_u32 v15, v7, 20, 11
	v_mov_b32_e32 v4, v11
	v_sub_nc_u32_e32 v17, 0x3f1, v14
	v_lshrrev_b32_e32 v7, 16, v7
	s_wait_alu 0xfffd
	v_cndmask_b32_e64 v16, 0, 1, vcc_lo
	v_cmp_ne_u32_e32 vcc_lo, 0, v6
	v_sub_nc_u32_e32 v18, 0x3f1, v15
	v_med3_i32 v17, v17, 0, 13
	s_delay_alu instid0(VALU_DEP_4)
	v_and_or_b32 v16, 0xffe, v12, v16
	s_wait_alu 0xfffd
	v_cndmask_b32_e64 v6, 0, 1, vcc_lo
	v_mad_co_u64_u32 v[11:12], null, s7, v24, v[9:10]
	v_med3_i32 v18, v18, 0, 13
	v_or_b32_e32 v19, 0x1000, v16
	s_delay_alu instid0(VALU_DEP_4) | instskip(NEXT) | instid1(VALU_DEP_4)
	v_and_or_b32 v6, 0xffe, v13, v6
	v_mov_b32_e32 v9, v11
	s_delay_alu instid0(VALU_DEP_2) | instskip(SKIP_2) | instid1(VALU_DEP_4)
	v_or_b32_e32 v20, 0x1000, v6
	v_mad_co_u64_u32 v[12:13], null, s5, v46, v[4:5]
	v_lshrrev_b32_e32 v4, v17, v19
	v_lshlrev_b64_e32 v[8:9], 2, v[8:9]
	s_delay_alu instid0(VALU_DEP_4) | instskip(SKIP_1) | instid1(VALU_DEP_3)
	v_lshrrev_b32_e32 v13, v18, v20
	s_mul_u64 s[4:5], s[4:5], 0x138
	v_lshlrev_b32_e32 v17, v17, v4
	s_delay_alu instid0(VALU_DEP_2) | instskip(NEXT) | instid1(VALU_DEP_2)
	v_dual_mov_b32 v11, v12 :: v_dual_lshlrev_b32 v12, v18, v13
	v_cmp_ne_u32_e32 vcc_lo, v17, v19
	s_wait_alu 0xfffd
	v_cndmask_b32_e64 v17, 0, 1, vcc_lo
	s_delay_alu instid0(VALU_DEP_3) | instskip(NEXT) | instid1(VALU_DEP_2)
	v_cmp_ne_u32_e32 vcc_lo, v12, v20
	v_or_b32_e32 v4, v4, v17
	v_add_nc_u32_e32 v15, 0xfffffc10, v15
	s_wait_alu 0xfffd
	v_cndmask_b32_e64 v12, 0, 1, vcc_lo
	s_delay_alu instid0(VALU_DEP_2) | instskip(NEXT) | instid1(VALU_DEP_2)
	v_lshl_or_b32 v17, v15, 12, v6
	v_or_b32_e32 v12, v13, v12
	v_add_nc_u32_e32 v14, 0xfffffc10, v14
	v_lshrrev_b32_e32 v13, 16, v5
	s_delay_alu instid0(VALU_DEP_2) | instskip(SKIP_2) | instid1(VALU_DEP_2)
	v_lshl_or_b32 v18, v14, 12, v16
	v_cmp_gt_i32_e32 vcc_lo, 1, v14
	s_wait_alu 0xfffd
	v_cndmask_b32_e32 v4, v18, v4, vcc_lo
	v_cmp_gt_i32_e32 vcc_lo, 1, v15
	s_wait_alu 0xfffd
	v_cndmask_b32_e32 v5, v17, v12, vcc_lo
	v_cmp_ne_u32_e32 vcc_lo, 0, v16
	v_and_b32_e32 v16, 7, v4
	v_lshrrev_b32_e32 v4, 2, v4
	s_wait_alu 0xfffd
	v_cndmask_b32_e64 v12, 0, 1, vcc_lo
	v_cmp_ne_u32_e32 vcc_lo, 0, v6
	v_cmp_eq_u32_e64 s0, 3, v16
	s_delay_alu instid0(VALU_DEP_3) | instskip(SKIP_3) | instid1(VALU_DEP_2)
	v_lshl_or_b32 v12, v12, 9, 0x7c00
	s_wait_alu 0xfffd
	v_cndmask_b32_e64 v6, 0, 1, vcc_lo
	v_cmp_lt_i32_e32 vcc_lo, 5, v16
	v_lshl_or_b32 v6, v6, 9, 0x7c00
	s_or_b32 vcc_lo, s0, vcc_lo
	s_wait_alu 0xfffe
	v_add_co_ci_u32_e32 v4, vcc_lo, 0, v4, vcc_lo
	v_and_b32_e32 v17, 7, v5
	v_lshrrev_b32_e32 v5, 2, v5
	s_delay_alu instid0(VALU_DEP_2) | instskip(SKIP_1) | instid1(VALU_DEP_1)
	v_cmp_lt_i32_e64 s1, 5, v17
	v_cmp_eq_u32_e64 s2, 3, v17
	s_or_b32 vcc_lo, s2, s1
	s_wait_alu 0xfffe
	v_add_co_ci_u32_e32 v5, vcc_lo, 0, v5, vcc_lo
	v_cmp_gt_i32_e32 vcc_lo, 31, v14
	s_wait_alu 0xfffd
	v_cndmask_b32_e32 v4, 0x7c00, v4, vcc_lo
	v_cmp_gt_i32_e32 vcc_lo, 31, v15
	s_wait_alu 0xfffd
	v_cndmask_b32_e32 v16, 0x7c00, v5, vcc_lo
	v_cmp_eq_u32_e32 vcc_lo, 0x40f, v14
	s_wait_alu 0xfffd
	v_cndmask_b32_e32 v12, v4, v12, vcc_lo
	v_cmp_eq_u32_e32 vcc_lo, 0x40f, v15
	v_lshlrev_b64_e32 v[4:5], 2, v[10:11]
	s_delay_alu instid0(VALU_DEP_3)
	v_and_or_b32 v10, 0x8000, v13, v12
	s_wait_alu 0xfffd
	v_cndmask_b32_e32 v6, v16, v6, vcc_lo
	v_add_co_u32 v8, vcc_lo, s12, v8
	s_wait_alu 0xfffd
	v_add_co_ci_u32_e32 v9, vcc_lo, s13, v9, vcc_lo
	s_delay_alu instid0(VALU_DEP_3) | instskip(SKIP_4) | instid1(VALU_DEP_3)
	v_and_or_b32 v6, 0x8000, v7, v6
	v_and_b32_e32 v7, 0xffff, v10
	v_add_co_u32 v4, vcc_lo, v8, v4
	s_wait_alu 0xfffd
	v_add_co_ci_u32_e32 v5, vcc_lo, v9, v5, vcc_lo
	v_lshl_or_b32 v6, v6, 16, v7
	global_store_b32 v[4:5], v6, off
	global_load_b32 v8, v45, s[8:9] offset:312
	ds_load_2addr_b32 v[6:7], v48 offset0:78 offset1:156
	s_wait_dscnt 0x0
	v_lshrrev_b32_e32 v9, 16, v6
	s_wait_loadcnt 0x0
	v_lshrrev_b32_e32 v10, 16, v8
	s_delay_alu instid0(VALU_DEP_1) | instskip(SKIP_1) | instid1(VALU_DEP_2)
	v_mul_f16_e32 v11, v9, v10
	v_mul_f16_e32 v10, v6, v10
	v_fmac_f16_e32 v11, v6, v8
	s_delay_alu instid0(VALU_DEP_2) | instskip(NEXT) | instid1(VALU_DEP_2)
	v_fma_f16 v6, v8, v9, -v10
	v_cvt_f32_f16_e32 v8, v11
	s_delay_alu instid0(VALU_DEP_2) | instskip(NEXT) | instid1(VALU_DEP_2)
	v_cvt_f32_f16_e32 v6, v6
	v_cvt_f64_f32_e32 v[8:9], v8
	s_delay_alu instid0(VALU_DEP_2) | instskip(NEXT) | instid1(VALU_DEP_2)
	v_cvt_f64_f32_e32 v[10:11], v6
	v_mul_f64_e32 v[8:9], s[10:11], v[8:9]
	s_delay_alu instid0(VALU_DEP_2) | instskip(NEXT) | instid1(VALU_DEP_2)
	v_mul_f64_e32 v[10:11], s[10:11], v[10:11]
	v_and_or_b32 v6, 0x1ff, v9, v8
	s_delay_alu instid0(VALU_DEP_2)
	v_and_or_b32 v10, 0x1ff, v11, v10
	v_lshrrev_b32_e32 v8, 8, v9
	v_bfe_u32 v12, v9, 20, 11
	v_lshrrev_b32_e32 v13, 8, v11
	v_cmp_ne_u32_e32 vcc_lo, 0, v6
	v_bfe_u32 v14, v11, 20, 11
	v_lshrrev_b32_e32 v9, 16, v9
	v_sub_nc_u32_e32 v15, 0x3f1, v12
	v_add_nc_u32_e32 v12, 0xfffffc10, v12
	s_wait_alu 0xfffd
	v_cndmask_b32_e64 v6, 0, 1, vcc_lo
	v_cmp_ne_u32_e32 vcc_lo, 0, v10
	v_lshrrev_b32_e32 v11, 16, v11
	s_delay_alu instid0(VALU_DEP_3) | instskip(SKIP_4) | instid1(VALU_DEP_3)
	v_and_or_b32 v6, 0xffe, v8, v6
	s_wait_alu 0xfffd
	v_cndmask_b32_e64 v10, 0, 1, vcc_lo
	v_sub_nc_u32_e32 v8, 0x3f1, v14
	v_add_nc_u32_e32 v14, 0xfffffc10, v14
	v_and_or_b32 v10, 0xffe, v13, v10
	v_med3_i32 v13, v15, 0, 13
	v_or_b32_e32 v15, 0x1000, v6
	v_med3_i32 v8, v8, 0, 13
	s_delay_alu instid0(VALU_DEP_4) | instskip(NEXT) | instid1(VALU_DEP_3)
	v_or_b32_e32 v16, 0x1000, v10
	v_lshrrev_b32_e32 v17, v13, v15
	s_delay_alu instid0(VALU_DEP_2) | instskip(NEXT) | instid1(VALU_DEP_2)
	v_lshrrev_b32_e32 v18, v8, v16
	v_lshlrev_b32_e32 v13, v13, v17
	s_delay_alu instid0(VALU_DEP_2) | instskip(NEXT) | instid1(VALU_DEP_2)
	v_lshlrev_b32_e32 v8, v8, v18
	v_cmp_ne_u32_e32 vcc_lo, v13, v15
	v_lshl_or_b32 v15, v12, 12, v6
	s_wait_alu 0xfffd
	v_cndmask_b32_e64 v13, 0, 1, vcc_lo
	v_cmp_ne_u32_e32 vcc_lo, v8, v16
	v_lshl_or_b32 v16, v14, 12, v10
	s_delay_alu instid0(VALU_DEP_3) | instskip(SKIP_3) | instid1(VALU_DEP_2)
	v_or_b32_e32 v13, v17, v13
	s_wait_alu 0xfffd
	v_cndmask_b32_e64 v8, 0, 1, vcc_lo
	v_cmp_gt_i32_e32 vcc_lo, 1, v12
	v_or_b32_e32 v8, v18, v8
	s_wait_alu 0xfffd
	v_cndmask_b32_e32 v13, v15, v13, vcc_lo
	v_cmp_gt_i32_e32 vcc_lo, 1, v14
	s_wait_alu 0xfffd
	s_delay_alu instid0(VALU_DEP_2) | instskip(SKIP_2) | instid1(VALU_DEP_3)
	v_dual_cndmask_b32 v8, v16, v8 :: v_dual_and_b32 v15, 7, v13
	v_cmp_ne_u32_e32 vcc_lo, 0, v6
	v_lshrrev_b32_e32 v13, 2, v13
	v_cmp_eq_u32_e64 s0, 3, v15
	s_delay_alu instid0(VALU_DEP_4)
	v_and_b32_e32 v16, 7, v8
	s_wait_alu 0xfffd
	v_cndmask_b32_e64 v6, 0, 1, vcc_lo
	v_cmp_ne_u32_e32 vcc_lo, 0, v10
	v_lshrrev_b32_e32 v8, 2, v8
	v_cmp_lt_i32_e64 s1, 5, v16
	v_cmp_eq_u32_e64 s2, 3, v16
	s_wait_alu 0xfffd
	v_cndmask_b32_e64 v10, 0, 1, vcc_lo
	v_cmp_lt_i32_e32 vcc_lo, 5, v15
	v_lshl_or_b32 v6, v6, 9, 0x7c00
	s_delay_alu instid0(VALU_DEP_3)
	v_lshl_or_b32 v10, v10, 9, 0x7c00
	s_or_b32 vcc_lo, s0, vcc_lo
	s_wait_alu 0xfffe
	v_add_co_ci_u32_e32 v13, vcc_lo, 0, v13, vcc_lo
	s_or_b32 vcc_lo, s2, s1
	s_wait_alu 0xfffe
	v_add_co_ci_u32_e32 v8, vcc_lo, 0, v8, vcc_lo
	v_cmp_gt_i32_e32 vcc_lo, 31, v12
	s_wait_alu 0xfffd
	v_cndmask_b32_e32 v13, 0x7c00, v13, vcc_lo
	v_cmp_gt_i32_e32 vcc_lo, 31, v14
	s_wait_alu 0xfffd
	v_cndmask_b32_e32 v8, 0x7c00, v8, vcc_lo
	v_cmp_eq_u32_e32 vcc_lo, 0x40f, v12
	s_wait_alu 0xfffd
	v_cndmask_b32_e32 v6, v13, v6, vcc_lo
	v_cmp_eq_u32_e32 vcc_lo, 0x40f, v14
	s_delay_alu instid0(VALU_DEP_2)
	v_and_or_b32 v6, 0x8000, v9, v6
	s_wait_alu 0xfffd
	v_cndmask_b32_e32 v8, v8, v10, vcc_lo
	v_add_co_u32 v4, vcc_lo, v4, s4
	s_wait_alu 0xfffd
	v_add_co_ci_u32_e32 v5, vcc_lo, s5, v5, vcc_lo
	s_delay_alu instid0(VALU_DEP_3) | instskip(SKIP_1) | instid1(VALU_DEP_1)
	v_and_or_b32 v8, 0x8000, v11, v8
	v_and_b32_e32 v6, 0xffff, v6
	v_lshl_or_b32 v6, v8, 16, v6
	v_lshrrev_b32_e32 v8, 16, v7
	global_store_b32 v[4:5], v6, off
	global_load_b32 v6, v45, s[8:9] offset:624
	s_wait_loadcnt 0x0
	v_lshrrev_b32_e32 v9, 16, v6
	s_delay_alu instid0(VALU_DEP_1) | instskip(SKIP_1) | instid1(VALU_DEP_2)
	v_mul_f16_e32 v10, v8, v9
	v_mul_f16_e32 v9, v7, v9
	v_fmac_f16_e32 v10, v7, v6
	s_delay_alu instid0(VALU_DEP_2) | instskip(NEXT) | instid1(VALU_DEP_2)
	v_fma_f16 v6, v6, v8, -v9
	v_cvt_f32_f16_e32 v7, v10
	s_delay_alu instid0(VALU_DEP_2) | instskip(NEXT) | instid1(VALU_DEP_2)
	v_cvt_f32_f16_e32 v8, v6
	v_cvt_f64_f32_e32 v[6:7], v7
	s_delay_alu instid0(VALU_DEP_2) | instskip(NEXT) | instid1(VALU_DEP_2)
	v_cvt_f64_f32_e32 v[8:9], v8
	v_mul_f64_e32 v[6:7], s[10:11], v[6:7]
	s_delay_alu instid0(VALU_DEP_2) | instskip(NEXT) | instid1(VALU_DEP_2)
	v_mul_f64_e32 v[8:9], s[10:11], v[8:9]
	v_and_or_b32 v6, 0x1ff, v7, v6
	s_delay_alu instid0(VALU_DEP_2)
	v_and_or_b32 v8, 0x1ff, v9, v8
	v_lshrrev_b32_e32 v10, 8, v7
	v_bfe_u32 v11, v7, 20, 11
	v_lshrrev_b32_e32 v12, 8, v9
	v_cmp_ne_u32_e32 vcc_lo, 0, v6
	v_bfe_u32 v13, v9, 20, 11
	v_lshrrev_b32_e32 v7, 16, v7
	v_sub_nc_u32_e32 v14, 0x3f1, v11
	v_add_nc_u32_e32 v11, 0xfffffc10, v11
	s_wait_alu 0xfffd
	v_cndmask_b32_e64 v6, 0, 1, vcc_lo
	v_cmp_ne_u32_e32 vcc_lo, 0, v8
	v_lshrrev_b32_e32 v9, 16, v9
	s_delay_alu instid0(VALU_DEP_3) | instskip(SKIP_4) | instid1(VALU_DEP_3)
	v_and_or_b32 v6, 0xffe, v10, v6
	s_wait_alu 0xfffd
	v_cndmask_b32_e64 v8, 0, 1, vcc_lo
	v_sub_nc_u32_e32 v10, 0x3f1, v13
	v_add_nc_u32_e32 v13, 0xfffffc10, v13
	v_and_or_b32 v8, 0xffe, v12, v8
	v_med3_i32 v12, v14, 0, 13
	v_or_b32_e32 v14, 0x1000, v6
	v_med3_i32 v10, v10, 0, 13
	s_delay_alu instid0(VALU_DEP_4) | instskip(NEXT) | instid1(VALU_DEP_3)
	v_or_b32_e32 v15, 0x1000, v8
	v_lshrrev_b32_e32 v16, v12, v14
	s_delay_alu instid0(VALU_DEP_2) | instskip(NEXT) | instid1(VALU_DEP_2)
	v_lshrrev_b32_e32 v17, v10, v15
	v_lshlrev_b32_e32 v12, v12, v16
	s_delay_alu instid0(VALU_DEP_2) | instskip(NEXT) | instid1(VALU_DEP_2)
	v_lshlrev_b32_e32 v10, v10, v17
	v_cmp_ne_u32_e32 vcc_lo, v12, v14
	v_lshl_or_b32 v14, v11, 12, v6
	s_wait_alu 0xfffd
	v_cndmask_b32_e64 v12, 0, 1, vcc_lo
	v_cmp_ne_u32_e32 vcc_lo, v10, v15
	v_lshl_or_b32 v15, v13, 12, v8
	s_delay_alu instid0(VALU_DEP_3) | instskip(SKIP_3) | instid1(VALU_DEP_2)
	v_or_b32_e32 v12, v16, v12
	s_wait_alu 0xfffd
	v_cndmask_b32_e64 v10, 0, 1, vcc_lo
	v_cmp_gt_i32_e32 vcc_lo, 1, v11
	v_or_b32_e32 v10, v17, v10
	s_wait_alu 0xfffd
	v_cndmask_b32_e32 v12, v14, v12, vcc_lo
	v_cmp_gt_i32_e32 vcc_lo, 1, v13
	s_delay_alu instid0(VALU_DEP_2)
	v_and_b32_e32 v14, 7, v12
	s_wait_alu 0xfffd
	v_cndmask_b32_e32 v10, v15, v10, vcc_lo
	v_cmp_ne_u32_e32 vcc_lo, 0, v6
	v_lshrrev_b32_e32 v12, 2, v12
	v_cmp_eq_u32_e64 s0, 3, v14
	s_delay_alu instid0(VALU_DEP_4)
	v_and_b32_e32 v15, 7, v10
	s_wait_alu 0xfffd
	v_cndmask_b32_e64 v6, 0, 1, vcc_lo
	v_cmp_ne_u32_e32 vcc_lo, 0, v8
	v_lshrrev_b32_e32 v10, 2, v10
	v_cmp_lt_i32_e64 s1, 5, v15
	v_cmp_eq_u32_e64 s2, 3, v15
	s_wait_alu 0xfffd
	v_cndmask_b32_e64 v8, 0, 1, vcc_lo
	v_cmp_lt_i32_e32 vcc_lo, 5, v14
	v_lshl_or_b32 v6, v6, 9, 0x7c00
	s_delay_alu instid0(VALU_DEP_3)
	v_lshl_or_b32 v8, v8, 9, 0x7c00
	s_or_b32 vcc_lo, s0, vcc_lo
	s_wait_alu 0xfffe
	v_add_co_ci_u32_e32 v12, vcc_lo, 0, v12, vcc_lo
	s_or_b32 vcc_lo, s2, s1
	s_wait_alu 0xfffe
	v_add_co_ci_u32_e32 v10, vcc_lo, 0, v10, vcc_lo
	v_cmp_gt_i32_e32 vcc_lo, 31, v11
	s_wait_alu 0xfffd
	v_cndmask_b32_e32 v12, 0x7c00, v12, vcc_lo
	v_cmp_gt_i32_e32 vcc_lo, 31, v13
	s_wait_alu 0xfffd
	v_cndmask_b32_e32 v10, 0x7c00, v10, vcc_lo
	v_cmp_eq_u32_e32 vcc_lo, 0x40f, v11
	s_wait_alu 0xfffd
	v_cndmask_b32_e32 v6, v12, v6, vcc_lo
	v_cmp_eq_u32_e32 vcc_lo, 0x40f, v13
	s_delay_alu instid0(VALU_DEP_2)
	v_and_or_b32 v6, 0x8000, v7, v6
	s_wait_alu 0xfffd
	v_cndmask_b32_e32 v8, v10, v8, vcc_lo
	v_add_co_u32 v4, vcc_lo, v4, s4
	s_wait_alu 0xfffd
	v_add_co_ci_u32_e32 v5, vcc_lo, s5, v5, vcc_lo
	s_delay_alu instid0(VALU_DEP_3) | instskip(SKIP_1) | instid1(VALU_DEP_1)
	v_and_or_b32 v7, 0x8000, v9, v8
	v_and_b32_e32 v6, 0xffff, v6
	v_lshl_or_b32 v6, v7, 16, v6
	global_store_b32 v[4:5], v6, off
	global_load_b32 v8, v45, s[8:9] offset:936
	v_add_nc_u32_e32 v6, 0x200, v48
	ds_load_2addr_b32 v[6:7], v6 offset0:106 offset1:184
	s_wait_dscnt 0x0
	v_lshrrev_b32_e32 v9, 16, v6
	s_wait_loadcnt 0x0
	v_lshrrev_b32_e32 v10, 16, v8
	s_delay_alu instid0(VALU_DEP_1) | instskip(SKIP_1) | instid1(VALU_DEP_2)
	v_mul_f16_e32 v11, v9, v10
	v_mul_f16_e32 v10, v6, v10
	v_fmac_f16_e32 v11, v6, v8
	s_delay_alu instid0(VALU_DEP_2) | instskip(NEXT) | instid1(VALU_DEP_2)
	v_fma_f16 v6, v8, v9, -v10
	v_cvt_f32_f16_e32 v8, v11
	s_delay_alu instid0(VALU_DEP_2) | instskip(NEXT) | instid1(VALU_DEP_2)
	v_cvt_f32_f16_e32 v6, v6
	v_cvt_f64_f32_e32 v[8:9], v8
	s_delay_alu instid0(VALU_DEP_2) | instskip(NEXT) | instid1(VALU_DEP_2)
	v_cvt_f64_f32_e32 v[10:11], v6
	v_mul_f64_e32 v[8:9], s[10:11], v[8:9]
	s_delay_alu instid0(VALU_DEP_2) | instskip(NEXT) | instid1(VALU_DEP_2)
	v_mul_f64_e32 v[10:11], s[10:11], v[10:11]
	v_and_or_b32 v6, 0x1ff, v9, v8
	s_delay_alu instid0(VALU_DEP_2)
	v_and_or_b32 v10, 0x1ff, v11, v10
	v_lshrrev_b32_e32 v8, 8, v9
	v_bfe_u32 v12, v9, 20, 11
	v_lshrrev_b32_e32 v13, 8, v11
	v_cmp_ne_u32_e32 vcc_lo, 0, v6
	v_bfe_u32 v14, v11, 20, 11
	v_lshrrev_b32_e32 v9, 16, v9
	v_sub_nc_u32_e32 v15, 0x3f1, v12
	v_add_nc_u32_e32 v12, 0xfffffc10, v12
	s_wait_alu 0xfffd
	v_cndmask_b32_e64 v6, 0, 1, vcc_lo
	v_cmp_ne_u32_e32 vcc_lo, 0, v10
	v_lshrrev_b32_e32 v11, 16, v11
	s_delay_alu instid0(VALU_DEP_3) | instskip(SKIP_4) | instid1(VALU_DEP_3)
	v_and_or_b32 v6, 0xffe, v8, v6
	s_wait_alu 0xfffd
	v_cndmask_b32_e64 v10, 0, 1, vcc_lo
	v_sub_nc_u32_e32 v8, 0x3f1, v14
	v_add_nc_u32_e32 v14, 0xfffffc10, v14
	v_and_or_b32 v10, 0xffe, v13, v10
	v_med3_i32 v13, v15, 0, 13
	v_or_b32_e32 v15, 0x1000, v6
	v_med3_i32 v8, v8, 0, 13
	s_delay_alu instid0(VALU_DEP_4) | instskip(NEXT) | instid1(VALU_DEP_3)
	v_or_b32_e32 v16, 0x1000, v10
	v_lshrrev_b32_e32 v17, v13, v15
	s_delay_alu instid0(VALU_DEP_2) | instskip(NEXT) | instid1(VALU_DEP_2)
	v_lshrrev_b32_e32 v18, v8, v16
	v_lshlrev_b32_e32 v13, v13, v17
	s_delay_alu instid0(VALU_DEP_2) | instskip(NEXT) | instid1(VALU_DEP_2)
	v_lshlrev_b32_e32 v8, v8, v18
	v_cmp_ne_u32_e32 vcc_lo, v13, v15
	v_lshl_or_b32 v15, v12, 12, v6
	s_wait_alu 0xfffd
	v_cndmask_b32_e64 v13, 0, 1, vcc_lo
	v_cmp_ne_u32_e32 vcc_lo, v8, v16
	v_lshl_or_b32 v16, v14, 12, v10
	s_delay_alu instid0(VALU_DEP_3) | instskip(SKIP_3) | instid1(VALU_DEP_2)
	v_or_b32_e32 v13, v17, v13
	s_wait_alu 0xfffd
	v_cndmask_b32_e64 v8, 0, 1, vcc_lo
	v_cmp_gt_i32_e32 vcc_lo, 1, v12
	v_or_b32_e32 v8, v18, v8
	s_wait_alu 0xfffd
	v_cndmask_b32_e32 v13, v15, v13, vcc_lo
	v_cmp_gt_i32_e32 vcc_lo, 1, v14
	s_wait_alu 0xfffd
	s_delay_alu instid0(VALU_DEP_2) | instskip(SKIP_2) | instid1(VALU_DEP_3)
	v_dual_cndmask_b32 v8, v16, v8 :: v_dual_and_b32 v15, 7, v13
	v_cmp_ne_u32_e32 vcc_lo, 0, v6
	v_lshrrev_b32_e32 v13, 2, v13
	v_cmp_eq_u32_e64 s0, 3, v15
	s_delay_alu instid0(VALU_DEP_4)
	v_and_b32_e32 v16, 7, v8
	s_wait_alu 0xfffd
	v_cndmask_b32_e64 v6, 0, 1, vcc_lo
	v_cmp_ne_u32_e32 vcc_lo, 0, v10
	v_lshrrev_b32_e32 v8, 2, v8
	v_cmp_lt_i32_e64 s1, 5, v16
	v_cmp_eq_u32_e64 s2, 3, v16
	s_wait_alu 0xfffd
	v_cndmask_b32_e64 v10, 0, 1, vcc_lo
	v_cmp_lt_i32_e32 vcc_lo, 5, v15
	v_lshl_or_b32 v6, v6, 9, 0x7c00
	s_delay_alu instid0(VALU_DEP_3)
	v_lshl_or_b32 v10, v10, 9, 0x7c00
	s_or_b32 vcc_lo, s0, vcc_lo
	s_wait_alu 0xfffe
	v_add_co_ci_u32_e32 v13, vcc_lo, 0, v13, vcc_lo
	s_or_b32 vcc_lo, s2, s1
	s_wait_alu 0xfffe
	v_add_co_ci_u32_e32 v8, vcc_lo, 0, v8, vcc_lo
	v_cmp_gt_i32_e32 vcc_lo, 31, v12
	s_wait_alu 0xfffd
	v_cndmask_b32_e32 v13, 0x7c00, v13, vcc_lo
	v_cmp_gt_i32_e32 vcc_lo, 31, v14
	s_wait_alu 0xfffd
	v_cndmask_b32_e32 v8, 0x7c00, v8, vcc_lo
	v_cmp_eq_u32_e32 vcc_lo, 0x40f, v12
	s_wait_alu 0xfffd
	v_cndmask_b32_e32 v6, v13, v6, vcc_lo
	v_cmp_eq_u32_e32 vcc_lo, 0x40f, v14
	s_delay_alu instid0(VALU_DEP_2)
	v_and_or_b32 v6, 0x8000, v9, v6
	s_wait_alu 0xfffd
	v_cndmask_b32_e32 v8, v8, v10, vcc_lo
	v_add_co_u32 v4, vcc_lo, v4, s4
	s_wait_alu 0xfffd
	v_add_co_ci_u32_e32 v5, vcc_lo, s5, v5, vcc_lo
	s_delay_alu instid0(VALU_DEP_3) | instskip(SKIP_1) | instid1(VALU_DEP_1)
	v_and_or_b32 v8, 0x8000, v11, v8
	v_and_b32_e32 v6, 0xffff, v6
	v_lshl_or_b32 v6, v8, 16, v6
	v_lshrrev_b32_e32 v8, 16, v7
	global_store_b32 v[4:5], v6, off
	global_load_b32 v6, v45, s[8:9] offset:1248
	s_wait_loadcnt 0x0
	v_lshrrev_b32_e32 v9, 16, v6
	s_delay_alu instid0(VALU_DEP_1) | instskip(SKIP_1) | instid1(VALU_DEP_2)
	v_mul_f16_e32 v10, v8, v9
	v_mul_f16_e32 v9, v7, v9
	v_fmac_f16_e32 v10, v7, v6
	s_delay_alu instid0(VALU_DEP_2) | instskip(NEXT) | instid1(VALU_DEP_2)
	v_fma_f16 v6, v6, v8, -v9
	v_cvt_f32_f16_e32 v7, v10
	s_delay_alu instid0(VALU_DEP_2) | instskip(NEXT) | instid1(VALU_DEP_2)
	v_cvt_f32_f16_e32 v8, v6
	v_cvt_f64_f32_e32 v[6:7], v7
	s_delay_alu instid0(VALU_DEP_2) | instskip(NEXT) | instid1(VALU_DEP_2)
	v_cvt_f64_f32_e32 v[8:9], v8
	v_mul_f64_e32 v[6:7], s[10:11], v[6:7]
	s_delay_alu instid0(VALU_DEP_2) | instskip(NEXT) | instid1(VALU_DEP_2)
	v_mul_f64_e32 v[8:9], s[10:11], v[8:9]
	v_and_or_b32 v6, 0x1ff, v7, v6
	s_delay_alu instid0(VALU_DEP_2)
	v_and_or_b32 v8, 0x1ff, v9, v8
	v_lshrrev_b32_e32 v10, 8, v7
	v_bfe_u32 v11, v7, 20, 11
	v_lshrrev_b32_e32 v12, 8, v9
	v_cmp_ne_u32_e32 vcc_lo, 0, v6
	v_bfe_u32 v13, v9, 20, 11
	v_lshrrev_b32_e32 v7, 16, v7
	v_sub_nc_u32_e32 v14, 0x3f1, v11
	v_add_nc_u32_e32 v11, 0xfffffc10, v11
	s_wait_alu 0xfffd
	v_cndmask_b32_e64 v6, 0, 1, vcc_lo
	v_cmp_ne_u32_e32 vcc_lo, 0, v8
	v_lshrrev_b32_e32 v9, 16, v9
	s_delay_alu instid0(VALU_DEP_3) | instskip(SKIP_4) | instid1(VALU_DEP_3)
	v_and_or_b32 v6, 0xffe, v10, v6
	s_wait_alu 0xfffd
	v_cndmask_b32_e64 v8, 0, 1, vcc_lo
	v_sub_nc_u32_e32 v10, 0x3f1, v13
	v_add_nc_u32_e32 v13, 0xfffffc10, v13
	v_and_or_b32 v8, 0xffe, v12, v8
	v_med3_i32 v12, v14, 0, 13
	v_or_b32_e32 v14, 0x1000, v6
	v_med3_i32 v10, v10, 0, 13
	s_delay_alu instid0(VALU_DEP_4) | instskip(NEXT) | instid1(VALU_DEP_3)
	v_or_b32_e32 v15, 0x1000, v8
	v_lshrrev_b32_e32 v16, v12, v14
	s_delay_alu instid0(VALU_DEP_2) | instskip(NEXT) | instid1(VALU_DEP_2)
	v_lshrrev_b32_e32 v17, v10, v15
	v_lshlrev_b32_e32 v12, v12, v16
	s_delay_alu instid0(VALU_DEP_2) | instskip(NEXT) | instid1(VALU_DEP_2)
	v_lshlrev_b32_e32 v10, v10, v17
	v_cmp_ne_u32_e32 vcc_lo, v12, v14
	v_lshl_or_b32 v14, v11, 12, v6
	s_wait_alu 0xfffd
	v_cndmask_b32_e64 v12, 0, 1, vcc_lo
	v_cmp_ne_u32_e32 vcc_lo, v10, v15
	v_lshl_or_b32 v15, v13, 12, v8
	s_delay_alu instid0(VALU_DEP_3) | instskip(SKIP_3) | instid1(VALU_DEP_2)
	v_or_b32_e32 v12, v16, v12
	s_wait_alu 0xfffd
	v_cndmask_b32_e64 v10, 0, 1, vcc_lo
	v_cmp_gt_i32_e32 vcc_lo, 1, v11
	v_or_b32_e32 v10, v17, v10
	s_wait_alu 0xfffd
	v_cndmask_b32_e32 v12, v14, v12, vcc_lo
	v_cmp_gt_i32_e32 vcc_lo, 1, v13
	s_delay_alu instid0(VALU_DEP_2)
	v_and_b32_e32 v14, 7, v12
	s_wait_alu 0xfffd
	v_cndmask_b32_e32 v10, v15, v10, vcc_lo
	v_cmp_ne_u32_e32 vcc_lo, 0, v6
	v_lshrrev_b32_e32 v12, 2, v12
	v_cmp_eq_u32_e64 s0, 3, v14
	s_delay_alu instid0(VALU_DEP_4)
	v_and_b32_e32 v15, 7, v10
	s_wait_alu 0xfffd
	v_cndmask_b32_e64 v6, 0, 1, vcc_lo
	v_cmp_ne_u32_e32 vcc_lo, 0, v8
	v_lshrrev_b32_e32 v10, 2, v10
	v_cmp_lt_i32_e64 s1, 5, v15
	v_cmp_eq_u32_e64 s2, 3, v15
	s_wait_alu 0xfffd
	v_cndmask_b32_e64 v8, 0, 1, vcc_lo
	v_cmp_lt_i32_e32 vcc_lo, 5, v14
	v_lshl_or_b32 v6, v6, 9, 0x7c00
	s_delay_alu instid0(VALU_DEP_3)
	v_lshl_or_b32 v8, v8, 9, 0x7c00
	s_or_b32 vcc_lo, s0, vcc_lo
	s_wait_alu 0xfffe
	v_add_co_ci_u32_e32 v12, vcc_lo, 0, v12, vcc_lo
	s_or_b32 vcc_lo, s2, s1
	s_wait_alu 0xfffe
	v_add_co_ci_u32_e32 v10, vcc_lo, 0, v10, vcc_lo
	v_cmp_gt_i32_e32 vcc_lo, 31, v11
	s_wait_alu 0xfffd
	v_cndmask_b32_e32 v12, 0x7c00, v12, vcc_lo
	v_cmp_gt_i32_e32 vcc_lo, 31, v13
	s_wait_alu 0xfffd
	v_cndmask_b32_e32 v10, 0x7c00, v10, vcc_lo
	v_cmp_eq_u32_e32 vcc_lo, 0x40f, v11
	s_wait_alu 0xfffd
	v_cndmask_b32_e32 v6, v12, v6, vcc_lo
	v_cmp_eq_u32_e32 vcc_lo, 0x40f, v13
	s_delay_alu instid0(VALU_DEP_2)
	v_and_or_b32 v6, 0x8000, v7, v6
	s_wait_alu 0xfffd
	v_cndmask_b32_e32 v8, v10, v8, vcc_lo
	v_add_co_u32 v4, vcc_lo, v4, s4
	s_wait_alu 0xfffd
	v_add_co_ci_u32_e32 v5, vcc_lo, s5, v5, vcc_lo
	s_delay_alu instid0(VALU_DEP_3) | instskip(SKIP_1) | instid1(VALU_DEP_1)
	v_and_or_b32 v7, 0x8000, v9, v8
	v_and_b32_e32 v6, 0xffff, v6
	v_lshl_or_b32 v6, v7, 16, v6
	global_store_b32 v[4:5], v6, off
	global_load_b32 v8, v45, s[8:9] offset:1560
	ds_load_2addr_b32 v[6:7], v3 offset0:134 offset1:212
	s_wait_dscnt 0x0
	v_lshrrev_b32_e32 v3, 16, v6
	s_wait_loadcnt 0x0
	v_lshrrev_b32_e32 v9, 16, v8
	s_delay_alu instid0(VALU_DEP_1) | instskip(SKIP_1) | instid1(VALU_DEP_2)
	v_mul_f16_e32 v10, v3, v9
	v_mul_f16_e32 v9, v6, v9
	v_fmac_f16_e32 v10, v6, v8
	s_delay_alu instid0(VALU_DEP_2) | instskip(NEXT) | instid1(VALU_DEP_2)
	v_fma_f16 v3, v8, v3, -v9
	v_cvt_f32_f16_e32 v6, v10
	s_delay_alu instid0(VALU_DEP_2) | instskip(NEXT) | instid1(VALU_DEP_2)
	v_cvt_f32_f16_e32 v3, v3
	v_cvt_f64_f32_e32 v[8:9], v6
	s_delay_alu instid0(VALU_DEP_2) | instskip(NEXT) | instid1(VALU_DEP_2)
	v_cvt_f64_f32_e32 v[10:11], v3
	v_mul_f64_e32 v[8:9], s[10:11], v[8:9]
	s_delay_alu instid0(VALU_DEP_2) | instskip(NEXT) | instid1(VALU_DEP_2)
	v_mul_f64_e32 v[10:11], s[10:11], v[10:11]
	v_and_or_b32 v3, 0x1ff, v9, v8
	s_delay_alu instid0(VALU_DEP_2)
	v_and_or_b32 v10, 0x1ff, v11, v10
	v_lshrrev_b32_e32 v6, 8, v9
	v_bfe_u32 v8, v9, 20, 11
	v_lshrrev_b32_e32 v12, 8, v11
	v_cmp_ne_u32_e32 vcc_lo, 0, v3
	v_bfe_u32 v13, v11, 20, 11
	v_lshrrev_b32_e32 v9, 16, v9
	v_sub_nc_u32_e32 v14, 0x3f1, v8
	v_add_nc_u32_e32 v8, 0xfffffc10, v8
	s_wait_alu 0xfffd
	v_cndmask_b32_e64 v3, 0, 1, vcc_lo
	v_cmp_ne_u32_e32 vcc_lo, 0, v10
	s_delay_alu instid0(VALU_DEP_2) | instskip(SKIP_4) | instid1(VALU_DEP_3)
	v_and_or_b32 v3, 0xffe, v6, v3
	s_wait_alu 0xfffd
	v_cndmask_b32_e64 v10, 0, 1, vcc_lo
	v_sub_nc_u32_e32 v6, 0x3f1, v13
	v_add_nc_u32_e32 v13, 0xfffffc10, v13
	v_and_or_b32 v10, 0xffe, v12, v10
	v_med3_i32 v12, v14, 0, 13
	v_or_b32_e32 v14, 0x1000, v3
	v_med3_i32 v6, v6, 0, 13
	s_delay_alu instid0(VALU_DEP_4) | instskip(NEXT) | instid1(VALU_DEP_3)
	v_or_b32_e32 v15, 0x1000, v10
	v_lshrrev_b32_e32 v16, v12, v14
	s_delay_alu instid0(VALU_DEP_2) | instskip(NEXT) | instid1(VALU_DEP_2)
	v_lshrrev_b32_e32 v17, v6, v15
	v_lshlrev_b32_e32 v12, v12, v16
	s_delay_alu instid0(VALU_DEP_2) | instskip(NEXT) | instid1(VALU_DEP_2)
	v_lshlrev_b32_e32 v6, v6, v17
	v_cmp_ne_u32_e32 vcc_lo, v12, v14
	v_lshl_or_b32 v14, v8, 12, v3
	s_wait_alu 0xfffd
	v_cndmask_b32_e64 v12, 0, 1, vcc_lo
	v_cmp_ne_u32_e32 vcc_lo, v6, v15
	v_lshl_or_b32 v15, v13, 12, v10
	s_delay_alu instid0(VALU_DEP_3) | instskip(SKIP_3) | instid1(VALU_DEP_2)
	v_or_b32_e32 v12, v16, v12
	s_wait_alu 0xfffd
	v_cndmask_b32_e64 v6, 0, 1, vcc_lo
	v_cmp_gt_i32_e32 vcc_lo, 1, v8
	v_or_b32_e32 v6, v17, v6
	s_wait_alu 0xfffd
	v_cndmask_b32_e32 v12, v14, v12, vcc_lo
	v_cmp_gt_i32_e32 vcc_lo, 1, v13
	s_delay_alu instid0(VALU_DEP_2)
	v_and_b32_e32 v14, 7, v12
	s_wait_alu 0xfffd
	v_cndmask_b32_e32 v6, v15, v6, vcc_lo
	v_cmp_ne_u32_e32 vcc_lo, 0, v3
	v_lshrrev_b32_e32 v12, 2, v12
	v_cmp_eq_u32_e64 s0, 3, v14
	s_delay_alu instid0(VALU_DEP_4)
	v_and_b32_e32 v15, 7, v6
	s_wait_alu 0xfffd
	v_cndmask_b32_e64 v3, 0, 1, vcc_lo
	v_cmp_ne_u32_e32 vcc_lo, 0, v10
	v_lshrrev_b32_e32 v6, 2, v6
	v_cmp_lt_i32_e64 s1, 5, v15
	v_cmp_eq_u32_e64 s2, 3, v15
	s_wait_alu 0xfffd
	v_cndmask_b32_e64 v10, 0, 1, vcc_lo
	v_cmp_lt_i32_e32 vcc_lo, 5, v14
	v_lshl_or_b32 v3, v3, 9, 0x7c00
	s_delay_alu instid0(VALU_DEP_3)
	v_lshl_or_b32 v10, v10, 9, 0x7c00
	s_or_b32 vcc_lo, s0, vcc_lo
	s_wait_alu 0xfffe
	v_add_co_ci_u32_e32 v12, vcc_lo, 0, v12, vcc_lo
	s_or_b32 vcc_lo, s2, s1
	s_wait_alu 0xfffe
	v_add_co_ci_u32_e32 v6, vcc_lo, 0, v6, vcc_lo
	v_cmp_gt_i32_e32 vcc_lo, 31, v8
	s_wait_alu 0xfffd
	v_cndmask_b32_e32 v12, 0x7c00, v12, vcc_lo
	v_cmp_gt_i32_e32 vcc_lo, 31, v13
	s_wait_alu 0xfffd
	v_cndmask_b32_e32 v6, 0x7c00, v6, vcc_lo
	v_cmp_eq_u32_e32 vcc_lo, 0x40f, v8
	v_lshrrev_b32_e32 v8, 16, v11
	s_wait_alu 0xfffd
	v_cndmask_b32_e32 v3, v12, v3, vcc_lo
	v_cmp_eq_u32_e32 vcc_lo, 0x40f, v13
	s_delay_alu instid0(VALU_DEP_2) | instskip(SKIP_2) | instid1(VALU_DEP_1)
	v_and_or_b32 v3, 0x8000, v9, v3
	s_wait_alu 0xfffd
	v_cndmask_b32_e32 v6, v6, v10, vcc_lo
	v_and_or_b32 v6, 0x8000, v8, v6
	s_delay_alu instid0(VALU_DEP_3) | instskip(SKIP_3) | instid1(VALU_DEP_3)
	v_and_b32_e32 v8, 0xffff, v3
	v_add_co_u32 v3, vcc_lo, v4, s4
	s_wait_alu 0xfffd
	v_add_co_ci_u32_e32 v4, vcc_lo, s5, v5, vcc_lo
	v_lshl_or_b32 v5, v6, 16, v8
	v_lshrrev_b32_e32 v6, 16, v7
	global_store_b32 v[3:4], v5, off
	global_load_b32 v5, v45, s[8:9] offset:1872
	s_wait_loadcnt 0x0
	v_lshrrev_b32_e32 v8, 16, v5
	s_delay_alu instid0(VALU_DEP_1) | instskip(SKIP_1) | instid1(VALU_DEP_2)
	v_mul_f16_e32 v9, v6, v8
	v_mul_f16_e32 v8, v7, v8
	v_fmac_f16_e32 v9, v7, v5
	s_delay_alu instid0(VALU_DEP_2) | instskip(NEXT) | instid1(VALU_DEP_2)
	v_fma_f16 v5, v5, v6, -v8
	v_cvt_f32_f16_e32 v6, v9
	s_delay_alu instid0(VALU_DEP_2) | instskip(NEXT) | instid1(VALU_DEP_2)
	v_cvt_f32_f16_e32 v7, v5
	v_cvt_f64_f32_e32 v[5:6], v6
	s_delay_alu instid0(VALU_DEP_2) | instskip(NEXT) | instid1(VALU_DEP_2)
	v_cvt_f64_f32_e32 v[7:8], v7
	v_mul_f64_e32 v[5:6], s[10:11], v[5:6]
	s_delay_alu instid0(VALU_DEP_2) | instskip(NEXT) | instid1(VALU_DEP_2)
	v_mul_f64_e32 v[7:8], s[10:11], v[7:8]
	v_and_or_b32 v5, 0x1ff, v6, v5
	s_delay_alu instid0(VALU_DEP_2)
	v_and_or_b32 v7, 0x1ff, v8, v7
	v_lshrrev_b32_e32 v9, 8, v6
	v_bfe_u32 v10, v6, 20, 11
	v_lshrrev_b32_e32 v11, 8, v8
	v_cmp_ne_u32_e32 vcc_lo, 0, v5
	v_bfe_u32 v12, v8, 20, 11
	v_lshrrev_b32_e32 v6, 16, v6
	v_sub_nc_u32_e32 v13, 0x3f1, v10
	v_add_nc_u32_e32 v10, 0xfffffc10, v10
	s_wait_alu 0xfffd
	v_cndmask_b32_e64 v5, 0, 1, vcc_lo
	v_cmp_ne_u32_e32 vcc_lo, 0, v7
	v_lshrrev_b32_e32 v8, 16, v8
	s_delay_alu instid0(VALU_DEP_3) | instskip(SKIP_4) | instid1(VALU_DEP_3)
	v_and_or_b32 v5, 0xffe, v9, v5
	s_wait_alu 0xfffd
	v_cndmask_b32_e64 v7, 0, 1, vcc_lo
	v_sub_nc_u32_e32 v9, 0x3f1, v12
	v_add_nc_u32_e32 v12, 0xfffffc10, v12
	v_and_or_b32 v7, 0xffe, v11, v7
	v_med3_i32 v11, v13, 0, 13
	v_or_b32_e32 v13, 0x1000, v5
	v_med3_i32 v9, v9, 0, 13
	s_delay_alu instid0(VALU_DEP_4) | instskip(NEXT) | instid1(VALU_DEP_3)
	v_or_b32_e32 v14, 0x1000, v7
	v_lshrrev_b32_e32 v15, v11, v13
	s_delay_alu instid0(VALU_DEP_2) | instskip(NEXT) | instid1(VALU_DEP_2)
	v_lshrrev_b32_e32 v16, v9, v14
	v_lshlrev_b32_e32 v11, v11, v15
	s_delay_alu instid0(VALU_DEP_2) | instskip(NEXT) | instid1(VALU_DEP_2)
	v_lshlrev_b32_e32 v9, v9, v16
	v_cmp_ne_u32_e32 vcc_lo, v11, v13
	v_lshl_or_b32 v13, v10, 12, v5
	s_wait_alu 0xfffd
	v_cndmask_b32_e64 v11, 0, 1, vcc_lo
	v_cmp_ne_u32_e32 vcc_lo, v9, v14
	v_lshl_or_b32 v14, v12, 12, v7
	s_delay_alu instid0(VALU_DEP_3) | instskip(SKIP_3) | instid1(VALU_DEP_2)
	v_or_b32_e32 v11, v15, v11
	s_wait_alu 0xfffd
	v_cndmask_b32_e64 v9, 0, 1, vcc_lo
	v_cmp_gt_i32_e32 vcc_lo, 1, v10
	v_or_b32_e32 v9, v16, v9
	s_wait_alu 0xfffd
	v_cndmask_b32_e32 v11, v13, v11, vcc_lo
	v_cmp_gt_i32_e32 vcc_lo, 1, v12
	s_delay_alu instid0(VALU_DEP_2)
	v_and_b32_e32 v13, 7, v11
	s_wait_alu 0xfffd
	v_cndmask_b32_e32 v9, v14, v9, vcc_lo
	v_cmp_ne_u32_e32 vcc_lo, 0, v5
	v_lshrrev_b32_e32 v11, 2, v11
	v_cmp_eq_u32_e64 s0, 3, v13
	s_delay_alu instid0(VALU_DEP_4)
	v_and_b32_e32 v14, 7, v9
	s_wait_alu 0xfffd
	v_cndmask_b32_e64 v5, 0, 1, vcc_lo
	v_cmp_ne_u32_e32 vcc_lo, 0, v7
	v_lshrrev_b32_e32 v9, 2, v9
	v_cmp_lt_i32_e64 s1, 5, v14
	v_cmp_eq_u32_e64 s2, 3, v14
	s_wait_alu 0xfffd
	v_cndmask_b32_e64 v7, 0, 1, vcc_lo
	v_cmp_lt_i32_e32 vcc_lo, 5, v13
	v_lshl_or_b32 v5, v5, 9, 0x7c00
	s_delay_alu instid0(VALU_DEP_3)
	v_lshl_or_b32 v7, v7, 9, 0x7c00
	s_or_b32 vcc_lo, s0, vcc_lo
	s_wait_alu 0xfffe
	v_add_co_ci_u32_e32 v11, vcc_lo, 0, v11, vcc_lo
	s_or_b32 vcc_lo, s2, s1
	s_wait_alu 0xfffe
	v_add_co_ci_u32_e32 v9, vcc_lo, 0, v9, vcc_lo
	v_cmp_gt_i32_e32 vcc_lo, 31, v10
	s_wait_alu 0xfffd
	v_cndmask_b32_e32 v11, 0x7c00, v11, vcc_lo
	v_cmp_gt_i32_e32 vcc_lo, 31, v12
	s_wait_alu 0xfffd
	v_cndmask_b32_e32 v9, 0x7c00, v9, vcc_lo
	v_cmp_eq_u32_e32 vcc_lo, 0x40f, v10
	s_wait_alu 0xfffd
	v_cndmask_b32_e32 v5, v11, v5, vcc_lo
	v_cmp_eq_u32_e32 vcc_lo, 0x40f, v12
	s_delay_alu instid0(VALU_DEP_2)
	v_and_or_b32 v5, 0x8000, v6, v5
	s_wait_alu 0xfffd
	v_cndmask_b32_e32 v7, v9, v7, vcc_lo
	v_add_co_u32 v3, vcc_lo, v3, s4
	s_wait_alu 0xfffd
	v_add_co_ci_u32_e32 v4, vcc_lo, s5, v4, vcc_lo
	s_delay_alu instid0(VALU_DEP_3) | instskip(SKIP_1) | instid1(VALU_DEP_1)
	v_and_or_b32 v6, 0x8000, v8, v7
	v_and_b32_e32 v5, 0xffff, v5
	v_lshl_or_b32 v5, v6, 16, v5
	global_store_b32 v[3:4], v5, off
	global_load_b32 v7, v45, s[8:9] offset:2184
	v_add_nc_u32_e32 v5, 0x800, v48
	ds_load_2addr_b32 v[5:6], v5 offset0:34 offset1:112
	s_wait_dscnt 0x0
	v_lshrrev_b32_e32 v8, 16, v5
	s_wait_loadcnt 0x0
	v_lshrrev_b32_e32 v9, 16, v7
	s_delay_alu instid0(VALU_DEP_1) | instskip(SKIP_1) | instid1(VALU_DEP_2)
	v_mul_f16_e32 v10, v8, v9
	v_mul_f16_e32 v9, v5, v9
	v_fmac_f16_e32 v10, v5, v7
	s_delay_alu instid0(VALU_DEP_2) | instskip(NEXT) | instid1(VALU_DEP_2)
	v_fma_f16 v5, v7, v8, -v9
	v_cvt_f32_f16_e32 v7, v10
	s_delay_alu instid0(VALU_DEP_2) | instskip(NEXT) | instid1(VALU_DEP_2)
	v_cvt_f32_f16_e32 v5, v5
	v_cvt_f64_f32_e32 v[7:8], v7
	s_delay_alu instid0(VALU_DEP_2) | instskip(NEXT) | instid1(VALU_DEP_2)
	v_cvt_f64_f32_e32 v[9:10], v5
	v_mul_f64_e32 v[7:8], s[10:11], v[7:8]
	s_delay_alu instid0(VALU_DEP_2) | instskip(NEXT) | instid1(VALU_DEP_2)
	v_mul_f64_e32 v[9:10], s[10:11], v[9:10]
	v_and_or_b32 v5, 0x1ff, v8, v7
	s_delay_alu instid0(VALU_DEP_2)
	v_and_or_b32 v9, 0x1ff, v10, v9
	v_lshrrev_b32_e32 v7, 8, v8
	v_bfe_u32 v11, v8, 20, 11
	v_lshrrev_b32_e32 v12, 8, v10
	v_cmp_ne_u32_e32 vcc_lo, 0, v5
	v_bfe_u32 v13, v10, 20, 11
	v_lshrrev_b32_e32 v8, 16, v8
	v_sub_nc_u32_e32 v14, 0x3f1, v11
	v_add_nc_u32_e32 v11, 0xfffffc10, v11
	s_wait_alu 0xfffd
	v_cndmask_b32_e64 v5, 0, 1, vcc_lo
	v_cmp_ne_u32_e32 vcc_lo, 0, v9
	v_lshrrev_b32_e32 v10, 16, v10
	s_delay_alu instid0(VALU_DEP_3) | instskip(SKIP_4) | instid1(VALU_DEP_3)
	v_and_or_b32 v5, 0xffe, v7, v5
	s_wait_alu 0xfffd
	v_cndmask_b32_e64 v9, 0, 1, vcc_lo
	v_sub_nc_u32_e32 v7, 0x3f1, v13
	v_add_nc_u32_e32 v13, 0xfffffc10, v13
	v_and_or_b32 v9, 0xffe, v12, v9
	v_med3_i32 v12, v14, 0, 13
	v_or_b32_e32 v14, 0x1000, v5
	v_med3_i32 v7, v7, 0, 13
	s_delay_alu instid0(VALU_DEP_4) | instskip(NEXT) | instid1(VALU_DEP_3)
	v_or_b32_e32 v15, 0x1000, v9
	v_lshrrev_b32_e32 v16, v12, v14
	s_delay_alu instid0(VALU_DEP_2) | instskip(NEXT) | instid1(VALU_DEP_2)
	v_lshrrev_b32_e32 v17, v7, v15
	v_lshlrev_b32_e32 v12, v12, v16
	s_delay_alu instid0(VALU_DEP_2) | instskip(NEXT) | instid1(VALU_DEP_2)
	v_lshlrev_b32_e32 v7, v7, v17
	v_cmp_ne_u32_e32 vcc_lo, v12, v14
	v_lshl_or_b32 v14, v11, 12, v5
	s_wait_alu 0xfffd
	v_cndmask_b32_e64 v12, 0, 1, vcc_lo
	v_cmp_ne_u32_e32 vcc_lo, v7, v15
	v_lshl_or_b32 v15, v13, 12, v9
	s_delay_alu instid0(VALU_DEP_3) | instskip(SKIP_3) | instid1(VALU_DEP_2)
	v_or_b32_e32 v12, v16, v12
	s_wait_alu 0xfffd
	v_cndmask_b32_e64 v7, 0, 1, vcc_lo
	v_cmp_gt_i32_e32 vcc_lo, 1, v11
	v_or_b32_e32 v7, v17, v7
	s_wait_alu 0xfffd
	v_cndmask_b32_e32 v12, v14, v12, vcc_lo
	v_cmp_gt_i32_e32 vcc_lo, 1, v13
	s_wait_alu 0xfffd
	s_delay_alu instid0(VALU_DEP_2) | instskip(SKIP_2) | instid1(VALU_DEP_3)
	v_dual_cndmask_b32 v7, v15, v7 :: v_dual_and_b32 v14, 7, v12
	v_cmp_ne_u32_e32 vcc_lo, 0, v5
	v_lshrrev_b32_e32 v12, 2, v12
	v_cmp_eq_u32_e64 s0, 3, v14
	s_delay_alu instid0(VALU_DEP_4)
	v_and_b32_e32 v15, 7, v7
	s_wait_alu 0xfffd
	v_cndmask_b32_e64 v5, 0, 1, vcc_lo
	v_cmp_ne_u32_e32 vcc_lo, 0, v9
	v_lshrrev_b32_e32 v7, 2, v7
	v_cmp_lt_i32_e64 s1, 5, v15
	v_cmp_eq_u32_e64 s2, 3, v15
	s_wait_alu 0xfffd
	v_cndmask_b32_e64 v9, 0, 1, vcc_lo
	v_cmp_lt_i32_e32 vcc_lo, 5, v14
	v_lshl_or_b32 v5, v5, 9, 0x7c00
	s_delay_alu instid0(VALU_DEP_3)
	v_lshl_or_b32 v9, v9, 9, 0x7c00
	s_or_b32 vcc_lo, s0, vcc_lo
	s_wait_alu 0xfffe
	v_add_co_ci_u32_e32 v12, vcc_lo, 0, v12, vcc_lo
	s_or_b32 vcc_lo, s2, s1
	s_wait_alu 0xfffe
	v_add_co_ci_u32_e32 v7, vcc_lo, 0, v7, vcc_lo
	v_cmp_gt_i32_e32 vcc_lo, 31, v11
	s_wait_alu 0xfffd
	v_cndmask_b32_e32 v12, 0x7c00, v12, vcc_lo
	v_cmp_gt_i32_e32 vcc_lo, 31, v13
	s_wait_alu 0xfffd
	v_cndmask_b32_e32 v7, 0x7c00, v7, vcc_lo
	v_cmp_eq_u32_e32 vcc_lo, 0x40f, v11
	s_wait_alu 0xfffd
	v_cndmask_b32_e32 v5, v12, v5, vcc_lo
	v_cmp_eq_u32_e32 vcc_lo, 0x40f, v13
	s_delay_alu instid0(VALU_DEP_2)
	v_and_or_b32 v5, 0x8000, v8, v5
	s_wait_alu 0xfffd
	v_cndmask_b32_e32 v7, v7, v9, vcc_lo
	v_add_co_u32 v3, vcc_lo, v3, s4
	s_wait_alu 0xfffd
	v_add_co_ci_u32_e32 v4, vcc_lo, s5, v4, vcc_lo
	s_delay_alu instid0(VALU_DEP_3) | instskip(SKIP_1) | instid1(VALU_DEP_1)
	v_and_or_b32 v7, 0x8000, v10, v7
	v_and_b32_e32 v5, 0xffff, v5
	v_lshl_or_b32 v5, v7, 16, v5
	v_lshrrev_b32_e32 v7, 16, v6
	global_store_b32 v[3:4], v5, off
	global_load_b32 v5, v45, s[8:9] offset:2496
	s_wait_loadcnt 0x0
	v_lshrrev_b32_e32 v8, 16, v5
	s_delay_alu instid0(VALU_DEP_1) | instskip(SKIP_1) | instid1(VALU_DEP_2)
	v_mul_f16_e32 v9, v7, v8
	v_mul_f16_e32 v8, v6, v8
	v_fmac_f16_e32 v9, v6, v5
	s_delay_alu instid0(VALU_DEP_2) | instskip(NEXT) | instid1(VALU_DEP_2)
	v_fma_f16 v5, v5, v7, -v8
	v_cvt_f32_f16_e32 v6, v9
	s_delay_alu instid0(VALU_DEP_2) | instskip(NEXT) | instid1(VALU_DEP_2)
	v_cvt_f32_f16_e32 v7, v5
	v_cvt_f64_f32_e32 v[5:6], v6
	s_delay_alu instid0(VALU_DEP_2) | instskip(NEXT) | instid1(VALU_DEP_2)
	v_cvt_f64_f32_e32 v[7:8], v7
	v_mul_f64_e32 v[5:6], s[10:11], v[5:6]
	s_delay_alu instid0(VALU_DEP_2) | instskip(NEXT) | instid1(VALU_DEP_2)
	v_mul_f64_e32 v[7:8], s[10:11], v[7:8]
	v_and_or_b32 v5, 0x1ff, v6, v5
	s_delay_alu instid0(VALU_DEP_2)
	v_and_or_b32 v7, 0x1ff, v8, v7
	v_lshrrev_b32_e32 v9, 8, v6
	v_bfe_u32 v10, v6, 20, 11
	v_lshrrev_b32_e32 v11, 8, v8
	v_cmp_ne_u32_e32 vcc_lo, 0, v5
	v_bfe_u32 v12, v8, 20, 11
	v_lshrrev_b32_e32 v6, 16, v6
	v_sub_nc_u32_e32 v13, 0x3f1, v10
	v_add_nc_u32_e32 v10, 0xfffffc10, v10
	s_wait_alu 0xfffd
	v_cndmask_b32_e64 v5, 0, 1, vcc_lo
	v_cmp_ne_u32_e32 vcc_lo, 0, v7
	v_lshrrev_b32_e32 v8, 16, v8
	s_delay_alu instid0(VALU_DEP_3) | instskip(SKIP_4) | instid1(VALU_DEP_3)
	v_and_or_b32 v5, 0xffe, v9, v5
	s_wait_alu 0xfffd
	v_cndmask_b32_e64 v7, 0, 1, vcc_lo
	v_sub_nc_u32_e32 v9, 0x3f1, v12
	v_add_nc_u32_e32 v12, 0xfffffc10, v12
	v_and_or_b32 v7, 0xffe, v11, v7
	v_med3_i32 v11, v13, 0, 13
	v_or_b32_e32 v13, 0x1000, v5
	v_med3_i32 v9, v9, 0, 13
	s_delay_alu instid0(VALU_DEP_4) | instskip(NEXT) | instid1(VALU_DEP_3)
	v_or_b32_e32 v14, 0x1000, v7
	v_lshrrev_b32_e32 v15, v11, v13
	s_delay_alu instid0(VALU_DEP_2) | instskip(NEXT) | instid1(VALU_DEP_2)
	v_lshrrev_b32_e32 v16, v9, v14
	v_lshlrev_b32_e32 v11, v11, v15
	s_delay_alu instid0(VALU_DEP_2) | instskip(NEXT) | instid1(VALU_DEP_2)
	v_lshlrev_b32_e32 v9, v9, v16
	v_cmp_ne_u32_e32 vcc_lo, v11, v13
	v_lshl_or_b32 v13, v10, 12, v5
	s_wait_alu 0xfffd
	v_cndmask_b32_e64 v11, 0, 1, vcc_lo
	v_cmp_ne_u32_e32 vcc_lo, v9, v14
	v_lshl_or_b32 v14, v12, 12, v7
	s_delay_alu instid0(VALU_DEP_3) | instskip(SKIP_3) | instid1(VALU_DEP_2)
	v_or_b32_e32 v11, v15, v11
	s_wait_alu 0xfffd
	v_cndmask_b32_e64 v9, 0, 1, vcc_lo
	v_cmp_gt_i32_e32 vcc_lo, 1, v10
	v_or_b32_e32 v9, v16, v9
	s_wait_alu 0xfffd
	v_cndmask_b32_e32 v11, v13, v11, vcc_lo
	v_cmp_gt_i32_e32 vcc_lo, 1, v12
	s_delay_alu instid0(VALU_DEP_2)
	v_and_b32_e32 v13, 7, v11
	s_wait_alu 0xfffd
	v_cndmask_b32_e32 v9, v14, v9, vcc_lo
	v_cmp_ne_u32_e32 vcc_lo, 0, v5
	v_lshrrev_b32_e32 v11, 2, v11
	v_cmp_eq_u32_e64 s0, 3, v13
	s_delay_alu instid0(VALU_DEP_4)
	v_and_b32_e32 v14, 7, v9
	s_wait_alu 0xfffd
	v_cndmask_b32_e64 v5, 0, 1, vcc_lo
	v_cmp_ne_u32_e32 vcc_lo, 0, v7
	v_lshrrev_b32_e32 v9, 2, v9
	v_cmp_lt_i32_e64 s1, 5, v14
	v_cmp_eq_u32_e64 s2, 3, v14
	s_wait_alu 0xfffd
	v_cndmask_b32_e64 v7, 0, 1, vcc_lo
	v_cmp_lt_i32_e32 vcc_lo, 5, v13
	v_lshl_or_b32 v5, v5, 9, 0x7c00
	s_delay_alu instid0(VALU_DEP_3)
	v_lshl_or_b32 v7, v7, 9, 0x7c00
	s_or_b32 vcc_lo, s0, vcc_lo
	s_wait_alu 0xfffe
	v_add_co_ci_u32_e32 v11, vcc_lo, 0, v11, vcc_lo
	s_or_b32 vcc_lo, s2, s1
	s_wait_alu 0xfffe
	v_add_co_ci_u32_e32 v9, vcc_lo, 0, v9, vcc_lo
	v_cmp_gt_i32_e32 vcc_lo, 31, v10
	s_wait_alu 0xfffd
	v_cndmask_b32_e32 v11, 0x7c00, v11, vcc_lo
	v_cmp_gt_i32_e32 vcc_lo, 31, v12
	s_wait_alu 0xfffd
	v_cndmask_b32_e32 v9, 0x7c00, v9, vcc_lo
	v_cmp_eq_u32_e32 vcc_lo, 0x40f, v10
	s_wait_alu 0xfffd
	v_cndmask_b32_e32 v5, v11, v5, vcc_lo
	v_cmp_eq_u32_e32 vcc_lo, 0x40f, v12
	s_delay_alu instid0(VALU_DEP_2)
	v_and_or_b32 v5, 0x8000, v6, v5
	s_wait_alu 0xfffd
	v_cndmask_b32_e32 v7, v9, v7, vcc_lo
	v_add_co_u32 v3, vcc_lo, v3, s4
	s_wait_alu 0xfffd
	v_add_co_ci_u32_e32 v4, vcc_lo, s5, v4, vcc_lo
	s_delay_alu instid0(VALU_DEP_3) | instskip(SKIP_1) | instid1(VALU_DEP_1)
	v_and_or_b32 v6, 0x8000, v8, v7
	v_and_b32_e32 v5, 0xffff, v5
	v_lshl_or_b32 v5, v6, 16, v5
	global_store_b32 v[3:4], v5, off
	global_load_b32 v7, v45, s[8:9] offset:2808
	ds_load_2addr_b32 v[5:6], v2 offset0:62 offset1:140
	s_wait_dscnt 0x0
	v_lshrrev_b32_e32 v2, 16, v5
	s_wait_loadcnt 0x0
	v_lshrrev_b32_e32 v8, 16, v7
	s_delay_alu instid0(VALU_DEP_1) | instskip(SKIP_1) | instid1(VALU_DEP_2)
	v_mul_f16_e32 v9, v2, v8
	v_mul_f16_e32 v8, v5, v8
	v_fmac_f16_e32 v9, v5, v7
	s_delay_alu instid0(VALU_DEP_2) | instskip(NEXT) | instid1(VALU_DEP_2)
	v_fma_f16 v2, v7, v2, -v8
	v_cvt_f32_f16_e32 v5, v9
	s_delay_alu instid0(VALU_DEP_2) | instskip(NEXT) | instid1(VALU_DEP_2)
	v_cvt_f32_f16_e32 v2, v2
	v_cvt_f64_f32_e32 v[7:8], v5
	s_delay_alu instid0(VALU_DEP_2) | instskip(NEXT) | instid1(VALU_DEP_2)
	v_cvt_f64_f32_e32 v[9:10], v2
	v_mul_f64_e32 v[7:8], s[10:11], v[7:8]
	s_delay_alu instid0(VALU_DEP_2) | instskip(NEXT) | instid1(VALU_DEP_2)
	v_mul_f64_e32 v[9:10], s[10:11], v[9:10]
	v_and_or_b32 v2, 0x1ff, v8, v7
	s_delay_alu instid0(VALU_DEP_2)
	v_and_or_b32 v9, 0x1ff, v10, v9
	v_lshrrev_b32_e32 v5, 8, v8
	v_bfe_u32 v7, v8, 20, 11
	v_lshrrev_b32_e32 v11, 8, v10
	v_cmp_ne_u32_e32 vcc_lo, 0, v2
	v_bfe_u32 v12, v10, 20, 11
	v_lshrrev_b32_e32 v8, 16, v8
	v_sub_nc_u32_e32 v13, 0x3f1, v7
	v_add_nc_u32_e32 v7, 0xfffffc10, v7
	s_wait_alu 0xfffd
	v_cndmask_b32_e64 v2, 0, 1, vcc_lo
	v_cmp_ne_u32_e32 vcc_lo, 0, v9
	s_delay_alu instid0(VALU_DEP_2) | instskip(SKIP_4) | instid1(VALU_DEP_3)
	v_and_or_b32 v2, 0xffe, v5, v2
	s_wait_alu 0xfffd
	v_cndmask_b32_e64 v9, 0, 1, vcc_lo
	v_sub_nc_u32_e32 v5, 0x3f1, v12
	v_add_nc_u32_e32 v12, 0xfffffc10, v12
	v_and_or_b32 v9, 0xffe, v11, v9
	v_med3_i32 v11, v13, 0, 13
	v_or_b32_e32 v13, 0x1000, v2
	v_med3_i32 v5, v5, 0, 13
	s_delay_alu instid0(VALU_DEP_4) | instskip(NEXT) | instid1(VALU_DEP_3)
	v_or_b32_e32 v14, 0x1000, v9
	v_lshrrev_b32_e32 v15, v11, v13
	s_delay_alu instid0(VALU_DEP_2) | instskip(NEXT) | instid1(VALU_DEP_2)
	v_lshrrev_b32_e32 v16, v5, v14
	v_lshlrev_b32_e32 v11, v11, v15
	s_delay_alu instid0(VALU_DEP_2) | instskip(NEXT) | instid1(VALU_DEP_2)
	v_lshlrev_b32_e32 v5, v5, v16
	v_cmp_ne_u32_e32 vcc_lo, v11, v13
	v_lshl_or_b32 v13, v7, 12, v2
	s_wait_alu 0xfffd
	v_cndmask_b32_e64 v11, 0, 1, vcc_lo
	v_cmp_ne_u32_e32 vcc_lo, v5, v14
	v_lshl_or_b32 v14, v12, 12, v9
	s_delay_alu instid0(VALU_DEP_3) | instskip(SKIP_3) | instid1(VALU_DEP_2)
	v_or_b32_e32 v11, v15, v11
	s_wait_alu 0xfffd
	v_cndmask_b32_e64 v5, 0, 1, vcc_lo
	v_cmp_gt_i32_e32 vcc_lo, 1, v7
	v_or_b32_e32 v5, v16, v5
	s_wait_alu 0xfffd
	v_cndmask_b32_e32 v11, v13, v11, vcc_lo
	v_cmp_gt_i32_e32 vcc_lo, 1, v12
	s_delay_alu instid0(VALU_DEP_2)
	v_and_b32_e32 v13, 7, v11
	s_wait_alu 0xfffd
	v_cndmask_b32_e32 v5, v14, v5, vcc_lo
	v_cmp_ne_u32_e32 vcc_lo, 0, v2
	v_lshrrev_b32_e32 v11, 2, v11
	v_cmp_eq_u32_e64 s0, 3, v13
	s_delay_alu instid0(VALU_DEP_4)
	v_and_b32_e32 v14, 7, v5
	s_wait_alu 0xfffd
	v_cndmask_b32_e64 v2, 0, 1, vcc_lo
	v_cmp_ne_u32_e32 vcc_lo, 0, v9
	v_lshrrev_b32_e32 v5, 2, v5
	v_cmp_lt_i32_e64 s1, 5, v14
	v_cmp_eq_u32_e64 s2, 3, v14
	s_wait_alu 0xfffd
	v_cndmask_b32_e64 v9, 0, 1, vcc_lo
	v_cmp_lt_i32_e32 vcc_lo, 5, v13
	v_lshl_or_b32 v2, v2, 9, 0x7c00
	s_delay_alu instid0(VALU_DEP_3)
	v_lshl_or_b32 v9, v9, 9, 0x7c00
	s_or_b32 vcc_lo, s0, vcc_lo
	s_wait_alu 0xfffe
	v_add_co_ci_u32_e32 v11, vcc_lo, 0, v11, vcc_lo
	s_or_b32 vcc_lo, s2, s1
	s_wait_alu 0xfffe
	v_add_co_ci_u32_e32 v5, vcc_lo, 0, v5, vcc_lo
	v_cmp_gt_i32_e32 vcc_lo, 31, v7
	s_wait_alu 0xfffd
	v_cndmask_b32_e32 v11, 0x7c00, v11, vcc_lo
	v_cmp_gt_i32_e32 vcc_lo, 31, v12
	s_wait_alu 0xfffd
	v_cndmask_b32_e32 v5, 0x7c00, v5, vcc_lo
	v_cmp_eq_u32_e32 vcc_lo, 0x40f, v7
	v_lshrrev_b32_e32 v7, 16, v10
	s_wait_alu 0xfffd
	v_cndmask_b32_e32 v2, v11, v2, vcc_lo
	v_cmp_eq_u32_e32 vcc_lo, 0x40f, v12
	s_delay_alu instid0(VALU_DEP_2) | instskip(SKIP_2) | instid1(VALU_DEP_1)
	v_and_or_b32 v2, 0x8000, v8, v2
	s_wait_alu 0xfffd
	v_cndmask_b32_e32 v5, v5, v9, vcc_lo
	v_and_or_b32 v5, 0x8000, v7, v5
	s_delay_alu instid0(VALU_DEP_3) | instskip(SKIP_3) | instid1(VALU_DEP_3)
	v_and_b32_e32 v7, 0xffff, v2
	v_add_co_u32 v2, vcc_lo, v3, s4
	s_wait_alu 0xfffd
	v_add_co_ci_u32_e32 v3, vcc_lo, s5, v4, vcc_lo
	v_lshl_or_b32 v4, v5, 16, v7
	v_lshrrev_b32_e32 v5, 16, v6
	global_store_b32 v[2:3], v4, off
	global_load_b32 v4, v45, s[8:9] offset:3120
	s_wait_loadcnt 0x0
	v_lshrrev_b32_e32 v7, 16, v4
	s_delay_alu instid0(VALU_DEP_1) | instskip(SKIP_1) | instid1(VALU_DEP_2)
	v_mul_f16_e32 v8, v5, v7
	v_mul_f16_e32 v7, v6, v7
	v_fmac_f16_e32 v8, v6, v4
	s_delay_alu instid0(VALU_DEP_2) | instskip(NEXT) | instid1(VALU_DEP_2)
	v_fma_f16 v4, v4, v5, -v7
	v_cvt_f32_f16_e32 v5, v8
	s_delay_alu instid0(VALU_DEP_2) | instskip(NEXT) | instid1(VALU_DEP_2)
	v_cvt_f32_f16_e32 v6, v4
	v_cvt_f64_f32_e32 v[4:5], v5
	s_delay_alu instid0(VALU_DEP_2) | instskip(NEXT) | instid1(VALU_DEP_2)
	v_cvt_f64_f32_e32 v[6:7], v6
	v_mul_f64_e32 v[4:5], s[10:11], v[4:5]
	s_delay_alu instid0(VALU_DEP_2) | instskip(NEXT) | instid1(VALU_DEP_2)
	v_mul_f64_e32 v[6:7], s[10:11], v[6:7]
	v_and_or_b32 v4, 0x1ff, v5, v4
	s_delay_alu instid0(VALU_DEP_2)
	v_and_or_b32 v6, 0x1ff, v7, v6
	v_lshrrev_b32_e32 v8, 8, v5
	v_bfe_u32 v9, v5, 20, 11
	v_lshrrev_b32_e32 v10, 8, v7
	v_cmp_ne_u32_e32 vcc_lo, 0, v4
	v_bfe_u32 v11, v7, 20, 11
	v_lshrrev_b32_e32 v5, 16, v5
	v_sub_nc_u32_e32 v12, 0x3f1, v9
	v_add_nc_u32_e32 v9, 0xfffffc10, v9
	s_wait_alu 0xfffd
	v_cndmask_b32_e64 v4, 0, 1, vcc_lo
	v_cmp_ne_u32_e32 vcc_lo, 0, v6
	v_lshrrev_b32_e32 v7, 16, v7
	s_delay_alu instid0(VALU_DEP_3) | instskip(SKIP_4) | instid1(VALU_DEP_3)
	v_and_or_b32 v4, 0xffe, v8, v4
	s_wait_alu 0xfffd
	v_cndmask_b32_e64 v6, 0, 1, vcc_lo
	v_sub_nc_u32_e32 v8, 0x3f1, v11
	v_add_nc_u32_e32 v11, 0xfffffc10, v11
	v_and_or_b32 v6, 0xffe, v10, v6
	v_med3_i32 v10, v12, 0, 13
	v_or_b32_e32 v12, 0x1000, v4
	v_med3_i32 v8, v8, 0, 13
	s_delay_alu instid0(VALU_DEP_4) | instskip(NEXT) | instid1(VALU_DEP_3)
	v_or_b32_e32 v13, 0x1000, v6
	v_lshrrev_b32_e32 v14, v10, v12
	s_delay_alu instid0(VALU_DEP_2) | instskip(NEXT) | instid1(VALU_DEP_2)
	v_lshrrev_b32_e32 v15, v8, v13
	v_lshlrev_b32_e32 v10, v10, v14
	s_delay_alu instid0(VALU_DEP_2) | instskip(NEXT) | instid1(VALU_DEP_2)
	v_lshlrev_b32_e32 v8, v8, v15
	v_cmp_ne_u32_e32 vcc_lo, v10, v12
	v_lshl_or_b32 v12, v9, 12, v4
	s_wait_alu 0xfffd
	v_cndmask_b32_e64 v10, 0, 1, vcc_lo
	v_cmp_ne_u32_e32 vcc_lo, v8, v13
	v_lshl_or_b32 v13, v11, 12, v6
	s_delay_alu instid0(VALU_DEP_3) | instskip(SKIP_3) | instid1(VALU_DEP_2)
	v_or_b32_e32 v10, v14, v10
	s_wait_alu 0xfffd
	v_cndmask_b32_e64 v8, 0, 1, vcc_lo
	v_cmp_gt_i32_e32 vcc_lo, 1, v9
	v_or_b32_e32 v8, v15, v8
	s_wait_alu 0xfffd
	v_cndmask_b32_e32 v10, v12, v10, vcc_lo
	v_cmp_gt_i32_e32 vcc_lo, 1, v11
	s_delay_alu instid0(VALU_DEP_2)
	v_and_b32_e32 v12, 7, v10
	s_wait_alu 0xfffd
	v_cndmask_b32_e32 v8, v13, v8, vcc_lo
	v_cmp_ne_u32_e32 vcc_lo, 0, v4
	v_lshrrev_b32_e32 v10, 2, v10
	v_cmp_eq_u32_e64 s0, 3, v12
	s_wait_alu 0xfffd
	v_cndmask_b32_e64 v4, 0, 1, vcc_lo
	v_cmp_ne_u32_e32 vcc_lo, 0, v6
	s_delay_alu instid0(VALU_DEP_2) | instskip(SKIP_3) | instid1(VALU_DEP_2)
	v_lshl_or_b32 v4, v4, 9, 0x7c00
	s_wait_alu 0xfffd
	v_cndmask_b32_e64 v6, 0, 1, vcc_lo
	v_cmp_lt_i32_e32 vcc_lo, 5, v12
	v_lshl_or_b32 v6, v6, 9, 0x7c00
	s_or_b32 vcc_lo, s0, vcc_lo
	s_wait_alu 0xfffe
	v_add_co_ci_u32_e32 v10, vcc_lo, 0, v10, vcc_lo
	v_and_b32_e32 v13, 7, v8
	v_lshrrev_b32_e32 v8, 2, v8
	s_delay_alu instid0(VALU_DEP_2) | instskip(SKIP_1) | instid1(VALU_DEP_1)
	v_cmp_lt_i32_e64 s1, 5, v13
	v_cmp_eq_u32_e64 s2, 3, v13
	s_or_b32 vcc_lo, s2, s1
	s_wait_alu 0xfffe
	v_add_co_ci_u32_e32 v8, vcc_lo, 0, v8, vcc_lo
	v_cmp_gt_i32_e32 vcc_lo, 31, v9
	s_wait_alu 0xfffd
	v_cndmask_b32_e32 v10, 0x7c00, v10, vcc_lo
	v_cmp_gt_i32_e32 vcc_lo, 31, v11
	s_wait_alu 0xfffd
	v_cndmask_b32_e32 v8, 0x7c00, v8, vcc_lo
	v_cmp_eq_u32_e32 vcc_lo, 0x40f, v9
	s_wait_alu 0xfffd
	v_cndmask_b32_e32 v4, v10, v4, vcc_lo
	v_cmp_eq_u32_e32 vcc_lo, 0x40f, v11
	s_delay_alu instid0(VALU_DEP_2)
	v_and_or_b32 v4, 0x8000, v5, v4
	s_wait_alu 0xfffd
	v_cndmask_b32_e32 v6, v8, v6, vcc_lo
	v_add_co_u32 v2, vcc_lo, v2, s4
	s_wait_alu 0xfffd
	v_add_co_ci_u32_e32 v3, vcc_lo, s5, v3, vcc_lo
	s_delay_alu instid0(VALU_DEP_3) | instskip(SKIP_1) | instid1(VALU_DEP_1)
	v_and_or_b32 v5, 0x8000, v7, v6
	v_and_b32_e32 v4, 0xffff, v4
	v_lshl_or_b32 v4, v5, 16, v4
	global_store_b32 v[2:3], v4, off
	global_load_b32 v6, v45, s[8:9] offset:3432
	ds_load_2addr_b32 v[4:5], v1 offset0:90 offset1:168
	s_wait_dscnt 0x0
	v_lshrrev_b32_e32 v1, 16, v4
	s_wait_loadcnt 0x0
	v_lshrrev_b32_e32 v7, 16, v6
	s_delay_alu instid0(VALU_DEP_1) | instskip(SKIP_1) | instid1(VALU_DEP_2)
	v_mul_f16_e32 v8, v1, v7
	v_mul_f16_e32 v7, v4, v7
	v_fmac_f16_e32 v8, v4, v6
	s_delay_alu instid0(VALU_DEP_2) | instskip(NEXT) | instid1(VALU_DEP_2)
	v_fma_f16 v1, v6, v1, -v7
	v_cvt_f32_f16_e32 v4, v8
	s_delay_alu instid0(VALU_DEP_2) | instskip(NEXT) | instid1(VALU_DEP_2)
	v_cvt_f32_f16_e32 v1, v1
	v_cvt_f64_f32_e32 v[6:7], v4
	s_delay_alu instid0(VALU_DEP_2) | instskip(NEXT) | instid1(VALU_DEP_2)
	v_cvt_f64_f32_e32 v[8:9], v1
	v_mul_f64_e32 v[6:7], s[10:11], v[6:7]
	s_delay_alu instid0(VALU_DEP_2) | instskip(NEXT) | instid1(VALU_DEP_2)
	v_mul_f64_e32 v[8:9], s[10:11], v[8:9]
	v_and_or_b32 v1, 0x1ff, v7, v6
	s_delay_alu instid0(VALU_DEP_2)
	v_and_or_b32 v8, 0x1ff, v9, v8
	v_lshrrev_b32_e32 v4, 8, v7
	v_bfe_u32 v6, v7, 20, 11
	v_lshrrev_b32_e32 v10, 8, v9
	v_cmp_ne_u32_e32 vcc_lo, 0, v1
	v_bfe_u32 v11, v9, 20, 11
	v_lshrrev_b32_e32 v7, 16, v7
	v_sub_nc_u32_e32 v12, 0x3f1, v6
	v_add_nc_u32_e32 v6, 0xfffffc10, v6
	s_wait_alu 0xfffd
	v_cndmask_b32_e64 v1, 0, 1, vcc_lo
	v_cmp_ne_u32_e32 vcc_lo, 0, v8
	s_delay_alu instid0(VALU_DEP_2) | instskip(SKIP_3) | instid1(VALU_DEP_2)
	v_and_or_b32 v1, 0xffe, v4, v1
	s_wait_alu 0xfffd
	v_cndmask_b32_e64 v8, 0, 1, vcc_lo
	v_sub_nc_u32_e32 v4, 0x3f1, v11
	v_and_or_b32 v8, 0xffe, v10, v8
	v_med3_i32 v10, v12, 0, 13
	v_or_b32_e32 v12, 0x1000, v1
	s_delay_alu instid0(VALU_DEP_4) | instskip(NEXT) | instid1(VALU_DEP_4)
	v_med3_i32 v4, v4, 0, 13
	v_or_b32_e32 v13, 0x1000, v8
	s_delay_alu instid0(VALU_DEP_3) | instskip(NEXT) | instid1(VALU_DEP_2)
	v_lshrrev_b32_e32 v14, v10, v12
	v_lshrrev_b32_e32 v15, v4, v13
	s_delay_alu instid0(VALU_DEP_2) | instskip(NEXT) | instid1(VALU_DEP_2)
	v_lshlrev_b32_e32 v10, v10, v14
	v_lshlrev_b32_e32 v4, v4, v15
	s_delay_alu instid0(VALU_DEP_2) | instskip(SKIP_4) | instid1(VALU_DEP_2)
	v_cmp_ne_u32_e32 vcc_lo, v10, v12
	v_lshl_or_b32 v12, v6, 12, v1
	s_wait_alu 0xfffd
	v_cndmask_b32_e64 v10, 0, 1, vcc_lo
	v_cmp_ne_u32_e32 vcc_lo, v4, v13
	v_or_b32_e32 v10, v14, v10
	s_wait_alu 0xfffd
	v_cndmask_b32_e64 v4, 0, 1, vcc_lo
	v_cmp_gt_i32_e32 vcc_lo, 1, v6
	v_add_nc_u32_e32 v11, 0xfffffc10, v11
	s_delay_alu instid0(VALU_DEP_3) | instskip(SKIP_2) | instid1(VALU_DEP_3)
	v_or_b32_e32 v4, v15, v4
	s_wait_alu 0xfffd
	v_cndmask_b32_e32 v10, v12, v10, vcc_lo
	v_lshl_or_b32 v13, v11, 12, v8
	v_cmp_gt_i32_e32 vcc_lo, 1, v11
	s_delay_alu instid0(VALU_DEP_3)
	v_and_b32_e32 v12, 7, v10
	v_lshrrev_b32_e32 v10, 2, v10
	s_wait_alu 0xfffd
	v_cndmask_b32_e32 v4, v13, v4, vcc_lo
	v_cmp_ne_u32_e32 vcc_lo, 0, v1
	v_cmp_eq_u32_e64 s0, 3, v12
	s_wait_alu 0xfffd
	v_cndmask_b32_e64 v1, 0, 1, vcc_lo
	v_cmp_ne_u32_e32 vcc_lo, 0, v8
	s_delay_alu instid0(VALU_DEP_2) | instskip(SKIP_3) | instid1(VALU_DEP_2)
	v_lshl_or_b32 v1, v1, 9, 0x7c00
	s_wait_alu 0xfffd
	v_cndmask_b32_e64 v8, 0, 1, vcc_lo
	v_cmp_lt_i32_e32 vcc_lo, 5, v12
	v_lshl_or_b32 v8, v8, 9, 0x7c00
	s_or_b32 vcc_lo, s0, vcc_lo
	s_wait_alu 0xfffe
	v_add_co_ci_u32_e32 v10, vcc_lo, 0, v10, vcc_lo
	v_and_b32_e32 v13, 7, v4
	v_lshrrev_b32_e32 v4, 2, v4
	s_delay_alu instid0(VALU_DEP_2) | instskip(SKIP_1) | instid1(VALU_DEP_1)
	v_cmp_lt_i32_e64 s1, 5, v13
	v_cmp_eq_u32_e64 s2, 3, v13
	s_or_b32 vcc_lo, s2, s1
	s_wait_alu 0xfffe
	v_add_co_ci_u32_e32 v4, vcc_lo, 0, v4, vcc_lo
	v_cmp_gt_i32_e32 vcc_lo, 31, v6
	s_wait_alu 0xfffd
	v_cndmask_b32_e32 v10, 0x7c00, v10, vcc_lo
	v_cmp_gt_i32_e32 vcc_lo, 31, v11
	s_wait_alu 0xfffd
	v_cndmask_b32_e32 v4, 0x7c00, v4, vcc_lo
	v_cmp_eq_u32_e32 vcc_lo, 0x40f, v6
	v_lshrrev_b32_e32 v6, 16, v9
	s_wait_alu 0xfffd
	v_cndmask_b32_e32 v1, v10, v1, vcc_lo
	v_cmp_eq_u32_e32 vcc_lo, 0x40f, v11
	s_delay_alu instid0(VALU_DEP_2) | instskip(SKIP_2) | instid1(VALU_DEP_1)
	v_and_or_b32 v1, 0x8000, v7, v1
	s_wait_alu 0xfffd
	v_cndmask_b32_e32 v4, v4, v8, vcc_lo
	v_and_or_b32 v4, 0x8000, v6, v4
	s_delay_alu instid0(VALU_DEP_3) | instskip(SKIP_3) | instid1(VALU_DEP_3)
	v_and_b32_e32 v6, 0xffff, v1
	v_add_co_u32 v1, vcc_lo, v2, s4
	s_wait_alu 0xfffd
	v_add_co_ci_u32_e32 v2, vcc_lo, s5, v3, vcc_lo
	v_lshl_or_b32 v3, v4, 16, v6
	v_lshrrev_b32_e32 v4, 16, v5
	global_store_b32 v[1:2], v3, off
	global_load_b32 v3, v45, s[8:9] offset:3744
	s_wait_loadcnt 0x0
	v_lshrrev_b32_e32 v6, 16, v3
	s_delay_alu instid0(VALU_DEP_1) | instskip(SKIP_1) | instid1(VALU_DEP_2)
	v_mul_f16_e32 v7, v4, v6
	v_mul_f16_e32 v6, v5, v6
	v_fmac_f16_e32 v7, v5, v3
	s_delay_alu instid0(VALU_DEP_2) | instskip(NEXT) | instid1(VALU_DEP_2)
	v_fma_f16 v3, v3, v4, -v6
	v_cvt_f32_f16_e32 v4, v7
	s_delay_alu instid0(VALU_DEP_2) | instskip(NEXT) | instid1(VALU_DEP_2)
	v_cvt_f32_f16_e32 v5, v3
	v_cvt_f64_f32_e32 v[3:4], v4
	s_delay_alu instid0(VALU_DEP_2) | instskip(NEXT) | instid1(VALU_DEP_2)
	v_cvt_f64_f32_e32 v[5:6], v5
	v_mul_f64_e32 v[3:4], s[10:11], v[3:4]
	s_delay_alu instid0(VALU_DEP_2) | instskip(NEXT) | instid1(VALU_DEP_2)
	v_mul_f64_e32 v[5:6], s[10:11], v[5:6]
	v_and_or_b32 v3, 0x1ff, v4, v3
	s_delay_alu instid0(VALU_DEP_2)
	v_and_or_b32 v5, 0x1ff, v6, v5
	v_lshrrev_b32_e32 v7, 8, v4
	v_bfe_u32 v8, v4, 20, 11
	v_lshrrev_b32_e32 v9, 8, v6
	v_cmp_ne_u32_e32 vcc_lo, 0, v3
	v_bfe_u32 v10, v6, 20, 11
	v_lshrrev_b32_e32 v4, 16, v4
	v_sub_nc_u32_e32 v11, 0x3f1, v8
	v_add_nc_u32_e32 v8, 0xfffffc10, v8
	s_wait_alu 0xfffd
	v_cndmask_b32_e64 v3, 0, 1, vcc_lo
	v_cmp_ne_u32_e32 vcc_lo, 0, v5
	v_lshrrev_b32_e32 v6, 16, v6
	s_delay_alu instid0(VALU_DEP_3) | instskip(SKIP_4) | instid1(VALU_DEP_3)
	v_and_or_b32 v3, 0xffe, v7, v3
	s_wait_alu 0xfffd
	v_cndmask_b32_e64 v5, 0, 1, vcc_lo
	v_sub_nc_u32_e32 v7, 0x3f1, v10
	v_add_nc_u32_e32 v10, 0xfffffc10, v10
	v_and_or_b32 v5, 0xffe, v9, v5
	v_med3_i32 v9, v11, 0, 13
	v_or_b32_e32 v11, 0x1000, v3
	v_med3_i32 v7, v7, 0, 13
	s_delay_alu instid0(VALU_DEP_4) | instskip(NEXT) | instid1(VALU_DEP_3)
	v_or_b32_e32 v12, 0x1000, v5
	v_lshrrev_b32_e32 v13, v9, v11
	s_delay_alu instid0(VALU_DEP_2) | instskip(NEXT) | instid1(VALU_DEP_2)
	v_lshrrev_b32_e32 v14, v7, v12
	v_lshlrev_b32_e32 v9, v9, v13
	s_delay_alu instid0(VALU_DEP_2) | instskip(NEXT) | instid1(VALU_DEP_2)
	v_lshlrev_b32_e32 v7, v7, v14
	v_cmp_ne_u32_e32 vcc_lo, v9, v11
	v_lshl_or_b32 v11, v8, 12, v3
	s_wait_alu 0xfffd
	v_cndmask_b32_e64 v9, 0, 1, vcc_lo
	v_cmp_ne_u32_e32 vcc_lo, v7, v12
	v_lshl_or_b32 v12, v10, 12, v5
	s_delay_alu instid0(VALU_DEP_3) | instskip(SKIP_3) | instid1(VALU_DEP_2)
	v_or_b32_e32 v9, v13, v9
	s_wait_alu 0xfffd
	v_cndmask_b32_e64 v7, 0, 1, vcc_lo
	v_cmp_gt_i32_e32 vcc_lo, 1, v8
	v_or_b32_e32 v7, v14, v7
	s_wait_alu 0xfffd
	v_cndmask_b32_e32 v9, v11, v9, vcc_lo
	v_cmp_gt_i32_e32 vcc_lo, 1, v10
	s_delay_alu instid0(VALU_DEP_2)
	v_and_b32_e32 v11, 7, v9
	s_wait_alu 0xfffd
	v_cndmask_b32_e32 v7, v12, v7, vcc_lo
	v_cmp_ne_u32_e32 vcc_lo, 0, v3
	v_lshrrev_b32_e32 v9, 2, v9
	v_cmp_eq_u32_e64 s0, 3, v11
	s_delay_alu instid0(VALU_DEP_4)
	v_and_b32_e32 v12, 7, v7
	s_wait_alu 0xfffd
	v_cndmask_b32_e64 v3, 0, 1, vcc_lo
	v_cmp_ne_u32_e32 vcc_lo, 0, v5
	v_lshrrev_b32_e32 v7, 2, v7
	v_cmp_lt_i32_e64 s1, 5, v12
	v_cmp_eq_u32_e64 s2, 3, v12
	s_wait_alu 0xfffd
	v_cndmask_b32_e64 v5, 0, 1, vcc_lo
	v_cmp_lt_i32_e32 vcc_lo, 5, v11
	v_lshl_or_b32 v3, v3, 9, 0x7c00
	s_delay_alu instid0(VALU_DEP_3)
	v_lshl_or_b32 v5, v5, 9, 0x7c00
	s_or_b32 vcc_lo, s0, vcc_lo
	s_wait_alu 0xfffe
	v_add_co_ci_u32_e32 v9, vcc_lo, 0, v9, vcc_lo
	s_or_b32 vcc_lo, s2, s1
	s_wait_alu 0xfffe
	v_add_co_ci_u32_e32 v7, vcc_lo, 0, v7, vcc_lo
	v_cmp_gt_i32_e32 vcc_lo, 31, v8
	s_wait_alu 0xfffd
	v_cndmask_b32_e32 v9, 0x7c00, v9, vcc_lo
	v_cmp_gt_i32_e32 vcc_lo, 31, v10
	s_wait_alu 0xfffd
	v_cndmask_b32_e32 v7, 0x7c00, v7, vcc_lo
	v_cmp_eq_u32_e32 vcc_lo, 0x40f, v8
	s_wait_alu 0xfffd
	v_cndmask_b32_e32 v3, v9, v3, vcc_lo
	v_cmp_eq_u32_e32 vcc_lo, 0x40f, v10
	s_delay_alu instid0(VALU_DEP_2)
	v_and_or_b32 v3, 0x8000, v4, v3
	s_wait_alu 0xfffd
	v_cndmask_b32_e32 v5, v7, v5, vcc_lo
	v_add_co_u32 v1, vcc_lo, v1, s4
	s_wait_alu 0xfffd
	v_add_co_ci_u32_e32 v2, vcc_lo, s5, v2, vcc_lo
	s_delay_alu instid0(VALU_DEP_3) | instskip(SKIP_1) | instid1(VALU_DEP_1)
	v_and_or_b32 v4, 0x8000, v6, v5
	v_and_b32_e32 v3, 0xffff, v3
	v_lshl_or_b32 v3, v4, 16, v3
	global_store_b32 v[1:2], v3, off
	global_load_b32 v5, v45, s[8:9] offset:4056
	v_add_nc_u32_e32 v3, 0xe00, v48
	ds_load_2addr_b32 v[3:4], v3 offset0:118 offset1:196
	s_wait_dscnt 0x0
	v_lshrrev_b32_e32 v6, 16, v3
	s_wait_loadcnt 0x0
	v_lshrrev_b32_e32 v7, 16, v5
	s_delay_alu instid0(VALU_DEP_1) | instskip(SKIP_1) | instid1(VALU_DEP_2)
	v_mul_f16_e32 v8, v6, v7
	v_mul_f16_e32 v7, v3, v7
	v_fmac_f16_e32 v8, v3, v5
	s_delay_alu instid0(VALU_DEP_2) | instskip(NEXT) | instid1(VALU_DEP_2)
	v_fma_f16 v3, v5, v6, -v7
	v_cvt_f32_f16_e32 v5, v8
	s_delay_alu instid0(VALU_DEP_2) | instskip(NEXT) | instid1(VALU_DEP_2)
	v_cvt_f32_f16_e32 v3, v3
	v_cvt_f64_f32_e32 v[5:6], v5
	s_delay_alu instid0(VALU_DEP_2) | instskip(NEXT) | instid1(VALU_DEP_2)
	v_cvt_f64_f32_e32 v[7:8], v3
	v_mul_f64_e32 v[5:6], s[10:11], v[5:6]
	s_delay_alu instid0(VALU_DEP_2) | instskip(NEXT) | instid1(VALU_DEP_2)
	v_mul_f64_e32 v[7:8], s[10:11], v[7:8]
	v_and_or_b32 v3, 0x1ff, v6, v5
	s_delay_alu instid0(VALU_DEP_2)
	v_and_or_b32 v7, 0x1ff, v8, v7
	v_lshrrev_b32_e32 v5, 8, v6
	v_bfe_u32 v9, v6, 20, 11
	v_lshrrev_b32_e32 v10, 8, v8
	v_cmp_ne_u32_e32 vcc_lo, 0, v3
	v_bfe_u32 v11, v8, 20, 11
	v_lshrrev_b32_e32 v6, 16, v6
	v_sub_nc_u32_e32 v12, 0x3f1, v9
	v_add_nc_u32_e32 v9, 0xfffffc10, v9
	s_wait_alu 0xfffd
	v_cndmask_b32_e64 v3, 0, 1, vcc_lo
	v_cmp_ne_u32_e32 vcc_lo, 0, v7
	v_lshrrev_b32_e32 v8, 16, v8
	s_delay_alu instid0(VALU_DEP_3) | instskip(SKIP_4) | instid1(VALU_DEP_3)
	v_and_or_b32 v3, 0xffe, v5, v3
	s_wait_alu 0xfffd
	v_cndmask_b32_e64 v7, 0, 1, vcc_lo
	v_sub_nc_u32_e32 v5, 0x3f1, v11
	v_add_nc_u32_e32 v11, 0xfffffc10, v11
	v_and_or_b32 v7, 0xffe, v10, v7
	v_med3_i32 v10, v12, 0, 13
	v_or_b32_e32 v12, 0x1000, v3
	v_med3_i32 v5, v5, 0, 13
	s_delay_alu instid0(VALU_DEP_4) | instskip(NEXT) | instid1(VALU_DEP_3)
	v_or_b32_e32 v13, 0x1000, v7
	v_lshrrev_b32_e32 v14, v10, v12
	s_delay_alu instid0(VALU_DEP_2) | instskip(NEXT) | instid1(VALU_DEP_2)
	v_lshrrev_b32_e32 v15, v5, v13
	v_lshlrev_b32_e32 v10, v10, v14
	s_delay_alu instid0(VALU_DEP_2) | instskip(NEXT) | instid1(VALU_DEP_2)
	v_lshlrev_b32_e32 v5, v5, v15
	v_cmp_ne_u32_e32 vcc_lo, v10, v12
	v_lshl_or_b32 v12, v9, 12, v3
	s_wait_alu 0xfffd
	v_cndmask_b32_e64 v10, 0, 1, vcc_lo
	v_cmp_ne_u32_e32 vcc_lo, v5, v13
	v_lshl_or_b32 v13, v11, 12, v7
	s_delay_alu instid0(VALU_DEP_3) | instskip(SKIP_3) | instid1(VALU_DEP_2)
	v_or_b32_e32 v10, v14, v10
	s_wait_alu 0xfffd
	v_cndmask_b32_e64 v5, 0, 1, vcc_lo
	v_cmp_gt_i32_e32 vcc_lo, 1, v9
	v_or_b32_e32 v5, v15, v5
	s_wait_alu 0xfffd
	v_cndmask_b32_e32 v10, v12, v10, vcc_lo
	v_cmp_gt_i32_e32 vcc_lo, 1, v11
	s_wait_alu 0xfffd
	s_delay_alu instid0(VALU_DEP_2) | instskip(SKIP_2) | instid1(VALU_DEP_3)
	v_dual_cndmask_b32 v5, v13, v5 :: v_dual_and_b32 v12, 7, v10
	v_cmp_ne_u32_e32 vcc_lo, 0, v3
	v_lshrrev_b32_e32 v10, 2, v10
	v_cmp_eq_u32_e64 s0, 3, v12
	s_delay_alu instid0(VALU_DEP_4)
	v_and_b32_e32 v13, 7, v5
	s_wait_alu 0xfffd
	v_cndmask_b32_e64 v3, 0, 1, vcc_lo
	v_cmp_ne_u32_e32 vcc_lo, 0, v7
	v_lshrrev_b32_e32 v5, 2, v5
	v_cmp_lt_i32_e64 s1, 5, v13
	v_cmp_eq_u32_e64 s2, 3, v13
	s_wait_alu 0xfffd
	v_cndmask_b32_e64 v7, 0, 1, vcc_lo
	v_cmp_lt_i32_e32 vcc_lo, 5, v12
	v_lshl_or_b32 v3, v3, 9, 0x7c00
	s_delay_alu instid0(VALU_DEP_3)
	v_lshl_or_b32 v7, v7, 9, 0x7c00
	s_or_b32 vcc_lo, s0, vcc_lo
	s_wait_alu 0xfffe
	v_add_co_ci_u32_e32 v10, vcc_lo, 0, v10, vcc_lo
	s_or_b32 vcc_lo, s2, s1
	s_wait_alu 0xfffe
	v_add_co_ci_u32_e32 v5, vcc_lo, 0, v5, vcc_lo
	v_cmp_gt_i32_e32 vcc_lo, 31, v9
	s_wait_alu 0xfffd
	v_cndmask_b32_e32 v10, 0x7c00, v10, vcc_lo
	v_cmp_gt_i32_e32 vcc_lo, 31, v11
	s_wait_alu 0xfffd
	v_cndmask_b32_e32 v5, 0x7c00, v5, vcc_lo
	v_cmp_eq_u32_e32 vcc_lo, 0x40f, v9
	s_wait_alu 0xfffd
	v_cndmask_b32_e32 v3, v10, v3, vcc_lo
	v_cmp_eq_u32_e32 vcc_lo, 0x40f, v11
	s_delay_alu instid0(VALU_DEP_2)
	v_and_or_b32 v3, 0x8000, v6, v3
	s_wait_alu 0xfffd
	v_cndmask_b32_e32 v5, v5, v7, vcc_lo
	v_add_co_u32 v1, vcc_lo, v1, s4
	s_wait_alu 0xfffd
	v_add_co_ci_u32_e32 v2, vcc_lo, s5, v2, vcc_lo
	s_delay_alu instid0(VALU_DEP_3) | instskip(SKIP_1) | instid1(VALU_DEP_1)
	v_and_or_b32 v5, 0x8000, v8, v5
	v_and_b32_e32 v3, 0xffff, v3
	v_lshl_or_b32 v3, v5, 16, v3
	v_lshrrev_b32_e32 v5, 16, v4
	global_store_b32 v[1:2], v3, off
	global_load_b32 v3, v45, s[8:9] offset:4368
	s_wait_loadcnt 0x0
	v_lshrrev_b32_e32 v6, 16, v3
	s_delay_alu instid0(VALU_DEP_1) | instskip(SKIP_1) | instid1(VALU_DEP_2)
	v_mul_f16_e32 v7, v5, v6
	v_mul_f16_e32 v6, v4, v6
	v_fmac_f16_e32 v7, v4, v3
	s_delay_alu instid0(VALU_DEP_2) | instskip(NEXT) | instid1(VALU_DEP_2)
	v_fma_f16 v3, v3, v5, -v6
	v_cvt_f32_f16_e32 v4, v7
	s_delay_alu instid0(VALU_DEP_2) | instskip(NEXT) | instid1(VALU_DEP_2)
	v_cvt_f32_f16_e32 v5, v3
	v_cvt_f64_f32_e32 v[3:4], v4
	s_delay_alu instid0(VALU_DEP_2) | instskip(NEXT) | instid1(VALU_DEP_2)
	v_cvt_f64_f32_e32 v[5:6], v5
	v_mul_f64_e32 v[3:4], s[10:11], v[3:4]
	s_delay_alu instid0(VALU_DEP_2) | instskip(NEXT) | instid1(VALU_DEP_2)
	v_mul_f64_e32 v[5:6], s[10:11], v[5:6]
	v_and_or_b32 v3, 0x1ff, v4, v3
	s_delay_alu instid0(VALU_DEP_2)
	v_and_or_b32 v5, 0x1ff, v6, v5
	v_lshrrev_b32_e32 v7, 8, v4
	v_bfe_u32 v8, v4, 20, 11
	v_lshrrev_b32_e32 v9, 8, v6
	v_cmp_ne_u32_e32 vcc_lo, 0, v3
	v_bfe_u32 v10, v6, 20, 11
	v_lshrrev_b32_e32 v4, 16, v4
	v_sub_nc_u32_e32 v11, 0x3f1, v8
	v_add_nc_u32_e32 v8, 0xfffffc10, v8
	s_wait_alu 0xfffd
	v_cndmask_b32_e64 v3, 0, 1, vcc_lo
	v_cmp_ne_u32_e32 vcc_lo, 0, v5
	v_lshrrev_b32_e32 v6, 16, v6
	s_delay_alu instid0(VALU_DEP_3) | instskip(SKIP_4) | instid1(VALU_DEP_3)
	v_and_or_b32 v3, 0xffe, v7, v3
	s_wait_alu 0xfffd
	v_cndmask_b32_e64 v5, 0, 1, vcc_lo
	v_sub_nc_u32_e32 v7, 0x3f1, v10
	v_add_nc_u32_e32 v10, 0xfffffc10, v10
	v_and_or_b32 v5, 0xffe, v9, v5
	v_med3_i32 v9, v11, 0, 13
	v_or_b32_e32 v11, 0x1000, v3
	v_med3_i32 v7, v7, 0, 13
	s_delay_alu instid0(VALU_DEP_4) | instskip(NEXT) | instid1(VALU_DEP_3)
	v_or_b32_e32 v12, 0x1000, v5
	v_lshrrev_b32_e32 v13, v9, v11
	s_delay_alu instid0(VALU_DEP_2) | instskip(NEXT) | instid1(VALU_DEP_2)
	v_lshrrev_b32_e32 v14, v7, v12
	v_lshlrev_b32_e32 v9, v9, v13
	s_delay_alu instid0(VALU_DEP_2) | instskip(NEXT) | instid1(VALU_DEP_2)
	v_lshlrev_b32_e32 v7, v7, v14
	v_cmp_ne_u32_e32 vcc_lo, v9, v11
	v_lshl_or_b32 v11, v8, 12, v3
	s_wait_alu 0xfffd
	v_cndmask_b32_e64 v9, 0, 1, vcc_lo
	v_cmp_ne_u32_e32 vcc_lo, v7, v12
	v_lshl_or_b32 v12, v10, 12, v5
	s_delay_alu instid0(VALU_DEP_3) | instskip(SKIP_3) | instid1(VALU_DEP_2)
	v_or_b32_e32 v9, v13, v9
	s_wait_alu 0xfffd
	v_cndmask_b32_e64 v7, 0, 1, vcc_lo
	v_cmp_gt_i32_e32 vcc_lo, 1, v8
	v_or_b32_e32 v7, v14, v7
	s_wait_alu 0xfffd
	v_cndmask_b32_e32 v9, v11, v9, vcc_lo
	v_cmp_gt_i32_e32 vcc_lo, 1, v10
	s_delay_alu instid0(VALU_DEP_2)
	v_and_b32_e32 v11, 7, v9
	s_wait_alu 0xfffd
	v_cndmask_b32_e32 v7, v12, v7, vcc_lo
	v_cmp_ne_u32_e32 vcc_lo, 0, v3
	v_lshrrev_b32_e32 v9, 2, v9
	v_cmp_eq_u32_e64 s0, 3, v11
	s_delay_alu instid0(VALU_DEP_4)
	v_and_b32_e32 v12, 7, v7
	s_wait_alu 0xfffd
	v_cndmask_b32_e64 v3, 0, 1, vcc_lo
	v_cmp_ne_u32_e32 vcc_lo, 0, v5
	v_lshrrev_b32_e32 v7, 2, v7
	v_cmp_lt_i32_e64 s1, 5, v12
	v_cmp_eq_u32_e64 s2, 3, v12
	s_wait_alu 0xfffd
	v_cndmask_b32_e64 v5, 0, 1, vcc_lo
	v_cmp_lt_i32_e32 vcc_lo, 5, v11
	v_lshl_or_b32 v3, v3, 9, 0x7c00
	s_delay_alu instid0(VALU_DEP_3)
	v_lshl_or_b32 v5, v5, 9, 0x7c00
	s_or_b32 vcc_lo, s0, vcc_lo
	s_wait_alu 0xfffe
	v_add_co_ci_u32_e32 v9, vcc_lo, 0, v9, vcc_lo
	s_or_b32 vcc_lo, s2, s1
	s_wait_alu 0xfffe
	v_add_co_ci_u32_e32 v7, vcc_lo, 0, v7, vcc_lo
	v_cmp_gt_i32_e32 vcc_lo, 31, v8
	s_wait_alu 0xfffd
	v_cndmask_b32_e32 v9, 0x7c00, v9, vcc_lo
	v_cmp_gt_i32_e32 vcc_lo, 31, v10
	s_wait_alu 0xfffd
	v_cndmask_b32_e32 v7, 0x7c00, v7, vcc_lo
	v_cmp_eq_u32_e32 vcc_lo, 0x40f, v8
	s_wait_alu 0xfffd
	v_cndmask_b32_e32 v3, v9, v3, vcc_lo
	v_cmp_eq_u32_e32 vcc_lo, 0x40f, v10
	s_delay_alu instid0(VALU_DEP_2)
	v_and_or_b32 v3, 0x8000, v4, v3
	s_wait_alu 0xfffd
	v_cndmask_b32_e32 v5, v7, v5, vcc_lo
	v_add_co_u32 v1, vcc_lo, v1, s4
	s_wait_alu 0xfffd
	v_add_co_ci_u32_e32 v2, vcc_lo, s5, v2, vcc_lo
	s_delay_alu instid0(VALU_DEP_3) | instskip(SKIP_1) | instid1(VALU_DEP_1)
	v_and_or_b32 v4, 0x8000, v6, v5
	v_and_b32_e32 v3, 0xffff, v3
	v_lshl_or_b32 v3, v4, 16, v3
	global_store_b32 v[1:2], v3, off
	global_load_b32 v5, v45, s[8:9] offset:4680
	ds_load_2addr_b32 v[3:4], v0 offset0:146 offset1:224
	s_wait_dscnt 0x0
	v_lshrrev_b32_e32 v0, 16, v3
	s_wait_loadcnt 0x0
	v_lshrrev_b32_e32 v6, 16, v5
	s_delay_alu instid0(VALU_DEP_1) | instskip(SKIP_1) | instid1(VALU_DEP_2)
	v_mul_f16_e32 v7, v0, v6
	v_mul_f16_e32 v6, v3, v6
	v_fmac_f16_e32 v7, v3, v5
	s_delay_alu instid0(VALU_DEP_2) | instskip(NEXT) | instid1(VALU_DEP_2)
	v_fma_f16 v0, v5, v0, -v6
	v_cvt_f32_f16_e32 v3, v7
	s_delay_alu instid0(VALU_DEP_2) | instskip(NEXT) | instid1(VALU_DEP_2)
	v_cvt_f32_f16_e32 v0, v0
	v_cvt_f64_f32_e32 v[5:6], v3
	s_delay_alu instid0(VALU_DEP_2) | instskip(NEXT) | instid1(VALU_DEP_2)
	v_cvt_f64_f32_e32 v[7:8], v0
	v_mul_f64_e32 v[5:6], s[10:11], v[5:6]
	s_delay_alu instid0(VALU_DEP_2) | instskip(NEXT) | instid1(VALU_DEP_2)
	v_mul_f64_e32 v[7:8], s[10:11], v[7:8]
	v_and_or_b32 v0, 0x1ff, v6, v5
	s_delay_alu instid0(VALU_DEP_2)
	v_and_or_b32 v7, 0x1ff, v8, v7
	v_lshrrev_b32_e32 v3, 8, v6
	v_bfe_u32 v5, v6, 20, 11
	v_lshrrev_b32_e32 v9, 8, v8
	v_cmp_ne_u32_e32 vcc_lo, 0, v0
	v_bfe_u32 v10, v8, 20, 11
	v_lshrrev_b32_e32 v6, 16, v6
	v_sub_nc_u32_e32 v11, 0x3f1, v5
	v_add_nc_u32_e32 v5, 0xfffffc10, v5
	s_wait_alu 0xfffd
	v_cndmask_b32_e64 v0, 0, 1, vcc_lo
	v_cmp_ne_u32_e32 vcc_lo, 0, v7
	s_delay_alu instid0(VALU_DEP_2) | instskip(SKIP_4) | instid1(VALU_DEP_3)
	v_and_or_b32 v0, 0xffe, v3, v0
	s_wait_alu 0xfffd
	v_cndmask_b32_e64 v7, 0, 1, vcc_lo
	v_sub_nc_u32_e32 v3, 0x3f1, v10
	v_add_nc_u32_e32 v10, 0xfffffc10, v10
	v_and_or_b32 v7, 0xffe, v9, v7
	v_med3_i32 v9, v11, 0, 13
	v_or_b32_e32 v11, 0x1000, v0
	v_med3_i32 v3, v3, 0, 13
	s_delay_alu instid0(VALU_DEP_4) | instskip(NEXT) | instid1(VALU_DEP_3)
	v_or_b32_e32 v12, 0x1000, v7
	v_lshrrev_b32_e32 v13, v9, v11
	s_delay_alu instid0(VALU_DEP_2) | instskip(NEXT) | instid1(VALU_DEP_2)
	v_lshrrev_b32_e32 v14, v3, v12
	v_lshlrev_b32_e32 v9, v9, v13
	s_delay_alu instid0(VALU_DEP_2) | instskip(NEXT) | instid1(VALU_DEP_2)
	v_lshlrev_b32_e32 v3, v3, v14
	v_cmp_ne_u32_e32 vcc_lo, v9, v11
	v_lshl_or_b32 v11, v5, 12, v0
	s_wait_alu 0xfffd
	v_cndmask_b32_e64 v9, 0, 1, vcc_lo
	v_cmp_ne_u32_e32 vcc_lo, v3, v12
	v_lshl_or_b32 v12, v10, 12, v7
	s_delay_alu instid0(VALU_DEP_3) | instskip(SKIP_3) | instid1(VALU_DEP_2)
	v_or_b32_e32 v9, v13, v9
	s_wait_alu 0xfffd
	v_cndmask_b32_e64 v3, 0, 1, vcc_lo
	v_cmp_gt_i32_e32 vcc_lo, 1, v5
	v_or_b32_e32 v3, v14, v3
	s_wait_alu 0xfffd
	v_cndmask_b32_e32 v9, v11, v9, vcc_lo
	v_cmp_gt_i32_e32 vcc_lo, 1, v10
	s_delay_alu instid0(VALU_DEP_2)
	v_and_b32_e32 v11, 7, v9
	s_wait_alu 0xfffd
	v_cndmask_b32_e32 v3, v12, v3, vcc_lo
	v_cmp_ne_u32_e32 vcc_lo, 0, v0
	v_lshrrev_b32_e32 v9, 2, v9
	v_cmp_eq_u32_e64 s0, 3, v11
	s_delay_alu instid0(VALU_DEP_4)
	v_and_b32_e32 v12, 7, v3
	s_wait_alu 0xfffd
	v_cndmask_b32_e64 v0, 0, 1, vcc_lo
	v_cmp_ne_u32_e32 vcc_lo, 0, v7
	v_lshrrev_b32_e32 v3, 2, v3
	v_cmp_lt_i32_e64 s1, 5, v12
	v_cmp_eq_u32_e64 s2, 3, v12
	s_wait_alu 0xfffd
	v_cndmask_b32_e64 v7, 0, 1, vcc_lo
	v_cmp_lt_i32_e32 vcc_lo, 5, v11
	v_lshl_or_b32 v0, v0, 9, 0x7c00
	s_delay_alu instid0(VALU_DEP_3)
	v_lshl_or_b32 v7, v7, 9, 0x7c00
	s_or_b32 vcc_lo, s0, vcc_lo
	s_wait_alu 0xfffe
	v_add_co_ci_u32_e32 v9, vcc_lo, 0, v9, vcc_lo
	s_or_b32 vcc_lo, s2, s1
	s_wait_alu 0xfffe
	v_add_co_ci_u32_e32 v3, vcc_lo, 0, v3, vcc_lo
	v_cmp_gt_i32_e32 vcc_lo, 31, v5
	s_wait_alu 0xfffd
	v_cndmask_b32_e32 v9, 0x7c00, v9, vcc_lo
	v_cmp_gt_i32_e32 vcc_lo, 31, v10
	s_wait_alu 0xfffd
	v_cndmask_b32_e32 v3, 0x7c00, v3, vcc_lo
	v_cmp_eq_u32_e32 vcc_lo, 0x40f, v5
	v_lshrrev_b32_e32 v5, 16, v8
	s_wait_alu 0xfffd
	v_cndmask_b32_e32 v0, v9, v0, vcc_lo
	v_cmp_eq_u32_e32 vcc_lo, 0x40f, v10
	s_delay_alu instid0(VALU_DEP_2) | instskip(SKIP_2) | instid1(VALU_DEP_1)
	v_and_or_b32 v0, 0x8000, v6, v0
	s_wait_alu 0xfffd
	v_cndmask_b32_e32 v3, v3, v7, vcc_lo
	v_and_or_b32 v3, 0x8000, v5, v3
	s_delay_alu instid0(VALU_DEP_3) | instskip(SKIP_3) | instid1(VALU_DEP_3)
	v_and_b32_e32 v5, 0xffff, v0
	v_add_co_u32 v0, vcc_lo, v1, s4
	s_wait_alu 0xfffd
	v_add_co_ci_u32_e32 v1, vcc_lo, s5, v2, vcc_lo
	v_lshl_or_b32 v2, v3, 16, v5
	v_lshrrev_b32_e32 v3, 16, v4
	global_store_b32 v[0:1], v2, off
	global_load_b32 v2, v45, s[8:9] offset:4992
	s_wait_loadcnt 0x0
	v_lshrrev_b32_e32 v5, 16, v2
	s_delay_alu instid0(VALU_DEP_1) | instskip(SKIP_1) | instid1(VALU_DEP_2)
	v_mul_f16_e32 v6, v3, v5
	v_mul_f16_e32 v5, v4, v5
	v_fmac_f16_e32 v6, v4, v2
	s_delay_alu instid0(VALU_DEP_2) | instskip(NEXT) | instid1(VALU_DEP_2)
	v_fma_f16 v2, v2, v3, -v5
	v_cvt_f32_f16_e32 v3, v6
	s_delay_alu instid0(VALU_DEP_2) | instskip(NEXT) | instid1(VALU_DEP_2)
	v_cvt_f32_f16_e32 v4, v2
	v_cvt_f64_f32_e32 v[2:3], v3
	s_delay_alu instid0(VALU_DEP_2) | instskip(NEXT) | instid1(VALU_DEP_2)
	v_cvt_f64_f32_e32 v[4:5], v4
	v_mul_f64_e32 v[2:3], s[10:11], v[2:3]
	s_delay_alu instid0(VALU_DEP_2) | instskip(NEXT) | instid1(VALU_DEP_2)
	v_mul_f64_e32 v[4:5], s[10:11], v[4:5]
	v_and_or_b32 v2, 0x1ff, v3, v2
	s_delay_alu instid0(VALU_DEP_2)
	v_and_or_b32 v4, 0x1ff, v5, v4
	v_lshrrev_b32_e32 v6, 8, v3
	v_bfe_u32 v7, v3, 20, 11
	v_lshrrev_b32_e32 v8, 8, v5
	v_cmp_ne_u32_e32 vcc_lo, 0, v2
	v_bfe_u32 v9, v5, 20, 11
	v_lshrrev_b32_e32 v3, 16, v3
	v_sub_nc_u32_e32 v10, 0x3f1, v7
	v_add_nc_u32_e32 v7, 0xfffffc10, v7
	s_wait_alu 0xfffd
	v_cndmask_b32_e64 v2, 0, 1, vcc_lo
	v_cmp_ne_u32_e32 vcc_lo, 0, v4
	v_lshrrev_b32_e32 v5, 16, v5
	s_delay_alu instid0(VALU_DEP_3) | instskip(SKIP_4) | instid1(VALU_DEP_3)
	v_and_or_b32 v2, 0xffe, v6, v2
	s_wait_alu 0xfffd
	v_cndmask_b32_e64 v4, 0, 1, vcc_lo
	v_sub_nc_u32_e32 v6, 0x3f1, v9
	v_add_nc_u32_e32 v9, 0xfffffc10, v9
	v_and_or_b32 v4, 0xffe, v8, v4
	v_med3_i32 v8, v10, 0, 13
	v_or_b32_e32 v10, 0x1000, v2
	v_med3_i32 v6, v6, 0, 13
	s_delay_alu instid0(VALU_DEP_4) | instskip(NEXT) | instid1(VALU_DEP_3)
	v_or_b32_e32 v11, 0x1000, v4
	v_lshrrev_b32_e32 v12, v8, v10
	s_delay_alu instid0(VALU_DEP_2) | instskip(NEXT) | instid1(VALU_DEP_2)
	v_lshrrev_b32_e32 v13, v6, v11
	v_lshlrev_b32_e32 v8, v8, v12
	s_delay_alu instid0(VALU_DEP_2) | instskip(NEXT) | instid1(VALU_DEP_2)
	v_lshlrev_b32_e32 v6, v6, v13
	v_cmp_ne_u32_e32 vcc_lo, v8, v10
	v_lshl_or_b32 v10, v7, 12, v2
	s_wait_alu 0xfffd
	v_cndmask_b32_e64 v8, 0, 1, vcc_lo
	v_cmp_ne_u32_e32 vcc_lo, v6, v11
	v_lshl_or_b32 v11, v9, 12, v4
	s_delay_alu instid0(VALU_DEP_3) | instskip(SKIP_3) | instid1(VALU_DEP_2)
	v_or_b32_e32 v8, v12, v8
	s_wait_alu 0xfffd
	v_cndmask_b32_e64 v6, 0, 1, vcc_lo
	v_cmp_gt_i32_e32 vcc_lo, 1, v7
	v_or_b32_e32 v6, v13, v6
	s_wait_alu 0xfffd
	v_cndmask_b32_e32 v8, v10, v8, vcc_lo
	v_cmp_gt_i32_e32 vcc_lo, 1, v9
	s_delay_alu instid0(VALU_DEP_2)
	v_and_b32_e32 v10, 7, v8
	s_wait_alu 0xfffd
	v_cndmask_b32_e32 v6, v11, v6, vcc_lo
	v_cmp_ne_u32_e32 vcc_lo, 0, v2
	v_lshrrev_b32_e32 v8, 2, v8
	v_cmp_eq_u32_e64 s0, 3, v10
	s_delay_alu instid0(VALU_DEP_4)
	v_and_b32_e32 v11, 7, v6
	s_wait_alu 0xfffd
	v_cndmask_b32_e64 v2, 0, 1, vcc_lo
	v_cmp_ne_u32_e32 vcc_lo, 0, v4
	v_lshrrev_b32_e32 v6, 2, v6
	v_cmp_lt_i32_e64 s1, 5, v11
	v_cmp_eq_u32_e64 s2, 3, v11
	s_wait_alu 0xfffd
	v_cndmask_b32_e64 v4, 0, 1, vcc_lo
	v_cmp_lt_i32_e32 vcc_lo, 5, v10
	v_lshl_or_b32 v2, v2, 9, 0x7c00
	s_delay_alu instid0(VALU_DEP_3)
	v_lshl_or_b32 v4, v4, 9, 0x7c00
	s_or_b32 vcc_lo, s0, vcc_lo
	s_wait_alu 0xfffe
	v_add_co_ci_u32_e32 v8, vcc_lo, 0, v8, vcc_lo
	s_or_b32 vcc_lo, s2, s1
	s_wait_alu 0xfffe
	v_add_co_ci_u32_e32 v6, vcc_lo, 0, v6, vcc_lo
	v_cmp_gt_i32_e32 vcc_lo, 31, v7
	s_wait_alu 0xfffd
	v_cndmask_b32_e32 v8, 0x7c00, v8, vcc_lo
	v_cmp_gt_i32_e32 vcc_lo, 31, v9
	s_wait_alu 0xfffd
	v_cndmask_b32_e32 v6, 0x7c00, v6, vcc_lo
	v_cmp_eq_u32_e32 vcc_lo, 0x40f, v7
	s_wait_alu 0xfffd
	v_cndmask_b32_e32 v2, v8, v2, vcc_lo
	v_cmp_eq_u32_e32 vcc_lo, 0x40f, v9
	s_delay_alu instid0(VALU_DEP_2)
	v_and_or_b32 v2, 0x8000, v3, v2
	s_wait_alu 0xfffd
	v_cndmask_b32_e32 v4, v6, v4, vcc_lo
	v_add_co_u32 v0, vcc_lo, v0, s4
	s_wait_alu 0xfffd
	v_add_co_ci_u32_e32 v1, vcc_lo, s5, v1, vcc_lo
	s_delay_alu instid0(VALU_DEP_3) | instskip(SKIP_1) | instid1(VALU_DEP_1)
	v_and_or_b32 v3, 0x8000, v5, v4
	v_and_b32_e32 v2, 0xffff, v2
	v_lshl_or_b32 v2, v3, 16, v2
	global_store_b32 v[0:1], v2, off
.LBB0_23:
	s_nop 0
	s_sendmsg sendmsg(MSG_DEALLOC_VGPRS)
	s_endpgm
	.section	.rodata,"a",@progbits
	.p2align	6, 0x0
	.amdhsa_kernel bluestein_single_back_len1326_dim1_half_op_CI_CI
		.amdhsa_group_segment_fixed_size 10608
		.amdhsa_private_segment_fixed_size 0
		.amdhsa_kernarg_size 104
		.amdhsa_user_sgpr_count 2
		.amdhsa_user_sgpr_dispatch_ptr 0
		.amdhsa_user_sgpr_queue_ptr 0
		.amdhsa_user_sgpr_kernarg_segment_ptr 1
		.amdhsa_user_sgpr_dispatch_id 0
		.amdhsa_user_sgpr_private_segment_size 0
		.amdhsa_wavefront_size32 1
		.amdhsa_uses_dynamic_stack 0
		.amdhsa_enable_private_segment 0
		.amdhsa_system_sgpr_workgroup_id_x 1
		.amdhsa_system_sgpr_workgroup_id_y 0
		.amdhsa_system_sgpr_workgroup_id_z 0
		.amdhsa_system_sgpr_workgroup_info 0
		.amdhsa_system_vgpr_workitem_id 0
		.amdhsa_next_free_vgpr 246
		.amdhsa_next_free_sgpr 14
		.amdhsa_reserve_vcc 1
		.amdhsa_float_round_mode_32 0
		.amdhsa_float_round_mode_16_64 0
		.amdhsa_float_denorm_mode_32 3
		.amdhsa_float_denorm_mode_16_64 3
		.amdhsa_fp16_overflow 0
		.amdhsa_workgroup_processor_mode 1
		.amdhsa_memory_ordered 1
		.amdhsa_forward_progress 0
		.amdhsa_round_robin_scheduling 0
		.amdhsa_exception_fp_ieee_invalid_op 0
		.amdhsa_exception_fp_denorm_src 0
		.amdhsa_exception_fp_ieee_div_zero 0
		.amdhsa_exception_fp_ieee_overflow 0
		.amdhsa_exception_fp_ieee_underflow 0
		.amdhsa_exception_fp_ieee_inexact 0
		.amdhsa_exception_int_div_zero 0
	.end_amdhsa_kernel
	.text
.Lfunc_end0:
	.size	bluestein_single_back_len1326_dim1_half_op_CI_CI, .Lfunc_end0-bluestein_single_back_len1326_dim1_half_op_CI_CI
                                        ; -- End function
	.section	.AMDGPU.csdata,"",@progbits
; Kernel info:
; codeLenInByte = 40212
; NumSgprs: 16
; NumVgprs: 246
; ScratchSize: 0
; MemoryBound: 0
; FloatMode: 240
; IeeeMode: 1
; LDSByteSize: 10608 bytes/workgroup (compile time only)
; SGPRBlocks: 1
; VGPRBlocks: 30
; NumSGPRsForWavesPerEU: 16
; NumVGPRsForWavesPerEU: 246
; Occupancy: 5
; WaveLimiterHint : 1
; COMPUTE_PGM_RSRC2:SCRATCH_EN: 0
; COMPUTE_PGM_RSRC2:USER_SGPR: 2
; COMPUTE_PGM_RSRC2:TRAP_HANDLER: 0
; COMPUTE_PGM_RSRC2:TGID_X_EN: 1
; COMPUTE_PGM_RSRC2:TGID_Y_EN: 0
; COMPUTE_PGM_RSRC2:TGID_Z_EN: 0
; COMPUTE_PGM_RSRC2:TIDIG_COMP_CNT: 0
	.text
	.p2alignl 7, 3214868480
	.fill 96, 4, 3214868480
	.type	__hip_cuid_485c2fed7c32ef92,@object ; @__hip_cuid_485c2fed7c32ef92
	.section	.bss,"aw",@nobits
	.globl	__hip_cuid_485c2fed7c32ef92
__hip_cuid_485c2fed7c32ef92:
	.byte	0                               ; 0x0
	.size	__hip_cuid_485c2fed7c32ef92, 1

	.ident	"AMD clang version 19.0.0git (https://github.com/RadeonOpenCompute/llvm-project roc-6.4.0 25133 c7fe45cf4b819c5991fe208aaa96edf142730f1d)"
	.section	".note.GNU-stack","",@progbits
	.addrsig
	.addrsig_sym __hip_cuid_485c2fed7c32ef92
	.amdgpu_metadata
---
amdhsa.kernels:
  - .args:
      - .actual_access:  read_only
        .address_space:  global
        .offset:         0
        .size:           8
        .value_kind:     global_buffer
      - .actual_access:  read_only
        .address_space:  global
        .offset:         8
        .size:           8
        .value_kind:     global_buffer
      - .actual_access:  read_only
        .address_space:  global
        .offset:         16
        .size:           8
        .value_kind:     global_buffer
      - .actual_access:  read_only
        .address_space:  global
        .offset:         24
        .size:           8
        .value_kind:     global_buffer
      - .actual_access:  read_only
        .address_space:  global
        .offset:         32
        .size:           8
        .value_kind:     global_buffer
      - .offset:         40
        .size:           8
        .value_kind:     by_value
      - .address_space:  global
        .offset:         48
        .size:           8
        .value_kind:     global_buffer
      - .address_space:  global
        .offset:         56
        .size:           8
        .value_kind:     global_buffer
      - .address_space:  global
        .offset:         64
        .size:           8
        .value_kind:     global_buffer
      - .address_space:  global
        .offset:         72
        .size:           8
        .value_kind:     global_buffer
      - .offset:         80
        .size:           4
        .value_kind:     by_value
      - .address_space:  global
        .offset:         88
        .size:           8
        .value_kind:     global_buffer
      - .address_space:  global
        .offset:         96
        .size:           8
        .value_kind:     global_buffer
    .group_segment_fixed_size: 10608
    .kernarg_segment_align: 8
    .kernarg_segment_size: 104
    .language:       OpenCL C
    .language_version:
      - 2
      - 0
    .max_flat_workgroup_size: 204
    .name:           bluestein_single_back_len1326_dim1_half_op_CI_CI
    .private_segment_fixed_size: 0
    .sgpr_count:     16
    .sgpr_spill_count: 0
    .symbol:         bluestein_single_back_len1326_dim1_half_op_CI_CI.kd
    .uniform_work_group_size: 1
    .uses_dynamic_stack: false
    .vgpr_count:     246
    .vgpr_spill_count: 0
    .wavefront_size: 32
    .workgroup_processor_mode: 1
amdhsa.target:   amdgcn-amd-amdhsa--gfx1201
amdhsa.version:
  - 1
  - 2
...

	.end_amdgpu_metadata
